;; amdgpu-corpus repo=pytorch/pytorch kind=compiled arch=gfx1250 opt=O3
	.amdgcn_target "amdgcn-amd-amdhsa--gfx1250"
	.amdhsa_code_object_version 6
	.section	.text._ZN2at6native21col2im_batched_kernelIdEEvlPKT_llllllllllllllPS2_l,"axG",@progbits,_ZN2at6native21col2im_batched_kernelIdEEvlPKT_llllllllllllllPS2_l,comdat
	.protected	_ZN2at6native21col2im_batched_kernelIdEEvlPKT_llllllllllllllPS2_l ; -- Begin function _ZN2at6native21col2im_batched_kernelIdEEvlPKT_llllllllllllllPS2_l
	.globl	_ZN2at6native21col2im_batched_kernelIdEEvlPKT_llllllllllllllPS2_l
	.p2align	8
	.type	_ZN2at6native21col2im_batched_kernelIdEEvlPKT_llllllllllllllPS2_l,@function
_ZN2at6native21col2im_batched_kernelIdEEvlPKT_llllllllllllllPS2_l: ; @_ZN2at6native21col2im_batched_kernelIdEEvlPKT_llllllllllllllPS2_l
; %bb.0:
	s_load_b32 s2, s[0:1], 0x9c
	s_bfe_u32 s20, ttmp6, 0x4000c
	s_load_b512 s[4:19], s[0:1], 0x0
	v_mov_b32_e32 v2, 0
	s_add_co_i32 s20, s20, 1
	s_and_b32 s3, ttmp6, 15
	s_mul_i32 s20, ttmp9, s20
	s_getreg_b32 s21, hwreg(HW_REG_IB_STS2, 6, 4)
	v_mov_b32_e32 v1, v2
	s_add_co_i32 s3, s3, s20
	s_mov_b32 s20, exec_lo
	s_wait_kmcnt 0x0
	s_and_b32 s2, s2, 0xffff
	s_cmp_eq_u32 s21, 0
	s_mul_u64 s[10:11], s[10:11], s[4:5]
	s_cselect_b32 s3, ttmp9, s3
	s_delay_alu instid0(SALU_CYCLE_1) | instskip(SKIP_1) | instid1(VALU_DEP_1)
	v_mad_nc_u64_u32 v[0:1], s2, s3, v[0:1]
	s_mov_b32 s3, 0
	v_cmpx_gt_i64_e64 s[10:11], v[0:1]
	s_cbranch_execz .LBB0_59
; %bb.1:
	s_load_b512 s[36:51], s[0:1], 0x40
	s_add_nc_u64 s[20:21], s[0:1], 0x90
	v_cvt_f32_u32_e32 v3, s4
	s_load_b32 s26, s[20:21], 0x0
	s_add_nc_u64 s[52:53], s[16:17], -1
	s_wait_xcnt 0x0
	s_load_b128 s[20:23], s[0:1], 0x80
	s_wait_xcnt 0x0
	s_add_nc_u64 s[0:1], s[18:19], -1
	v_rcp_iflag_f32_e32 v3, v3
	s_mul_u64 s[24:25], s[14:15], s[12:13]
	s_mov_b32 s27, s3
	s_lshl_b64 s[8:9], s[8:9], 3
	s_mov_b64 s[28:29], 0xffffffff
	s_ashr_i32 s30, s5, 31
	s_mov_b32 s33, 0
	v_nop
	v_mul_f32_e32 v3, 0x4f7ffffe, v3
	s_delay_alu instid0(VALU_DEP_1)
	v_cvt_u32_f32_e32 v36, v3
	s_wait_kmcnt 0x0
	s_mul_u64 s[34:35], s[46:47], s[0:1]
	s_mul_u64 s[52:53], s[44:45], s[52:53]
	s_lshl_b64 s[54:55], s[50:51], 3
	s_not_b64 s[56:57], s[52:53]
	s_not_b64 s[58:59], s[34:35]
	s_mul_i32 s26, s26, s2
	s_branch .LBB0_4
.LBB0_2:                                ;   in Loop: Header=BB0_4 Depth=1
	s_or_b32 exec_lo, exec_lo, s64
.LBB0_3:                                ;   in Loop: Header=BB0_4 Depth=1
	s_delay_alu instid0(SALU_CYCLE_1) | instskip(SKIP_2) | instid1(VALU_DEP_1)
	s_or_b32 exec_lo, exec_lo, s31
	v_mul_u64_e32 v[4:5], s[22:23], v[4:5]
	v_add_nc_u64_e32 v[0:1], s[26:27], v[0:1]
	v_cmp_le_i64_e32 vcc_lo, s[10:11], v[0:1]
	s_or_b32 s33, vcc_lo, s33
	s_delay_alu instid0(VALU_DEP_3) | instskip(NEXT) | instid1(VALU_DEP_1)
	v_lshl_add_u64 v[4:5], v[4:5], 3, s[20:21]
	v_lshl_add_u64 v[4:5], v[6:7], 3, v[4:5]
	global_store_b64 v[4:5], v[22:23], off
	s_wait_xcnt 0x0
	s_and_not1_b32 exec_lo, exec_lo, s33
	s_cbranch_execz .LBB0_59
.LBB0_4:                                ; =>This Loop Header: Depth=1
                                        ;     Child Loop BB0_44 Depth 2
                                        ;       Child Loop BB0_52 Depth 3
	v_or_b32_e32 v3, s5, v1
                                        ; implicit-def: $vgpr4_vgpr5
	s_mov_b32 s0, exec_lo
	s_delay_alu instid0(VALU_DEP_1)
	v_cmpx_ne_u64_e32 0, v[2:3]
	s_xor_b32 s1, exec_lo, s0
	s_cbranch_execz .LBB0_6
; %bb.5:                                ;   in Loop: Header=BB0_4 Depth=1
	s_mov_b32 s31, s30
	v_dual_mov_b32 v9, v2 :: v_dual_ashrrev_i32 v4, 31, v1
	s_add_nc_u64 s[60:61], s[4:5], s[30:31]
	s_delay_alu instid0(SALU_CYCLE_1) | instskip(NEXT) | instid1(VALU_DEP_1)
	s_xor_b64 s[60:61], s[60:61], s[30:31]
	v_mov_b32_e32 v5, v4
	s_cvt_f32_u32 s0, s60
	s_cvt_f32_u32 s2, s61
	s_sub_nc_u64 s[64:65], 0, s[60:61]
	s_delay_alu instid0(VALU_DEP_1) | instskip(NEXT) | instid1(SALU_CYCLE_1)
	v_add_nc_u64_e32 v[6:7], v[0:1], v[4:5]
	s_fmamk_f32 s0, s2, 0x4f800000, s0
	v_mov_b32_e32 v13, v2
	s_delay_alu instid0(SALU_CYCLE_2) | instskip(NEXT) | instid1(VALU_DEP_2)
	v_s_rcp_f32 s0, s0
	v_xor_b32_e32 v8, v6, v4
	s_delay_alu instid0(VALU_DEP_3) | instskip(SKIP_1) | instid1(TRANS32_DEP_1)
	v_dual_mov_b32 v17, v2 :: v_dual_bitop2_b32 v12, v7, v4 bitop3:0x14
	v_xor_b32_e32 v4, s30, v4
	s_mul_f32 s0, s0, 0x5f7ffffc
	s_delay_alu instid0(SALU_CYCLE_3) | instskip(NEXT) | instid1(SALU_CYCLE_3)
	s_mul_f32 s2, s0, 0x2f800000
	s_trunc_f32 s2, s2
	s_delay_alu instid0(SALU_CYCLE_3) | instskip(SKIP_1) | instid1(SALU_CYCLE_2)
	s_fmamk_f32 s0, s2, 0xcf800000, s0
	s_cvt_u32_f32 s63, s2
	s_cvt_u32_f32 s62, s0
	s_delay_alu instid0(SALU_CYCLE_3) | instskip(NEXT) | instid1(SALU_CYCLE_1)
	s_mul_u64 s[66:67], s[64:65], s[62:63]
	s_mul_hi_u32 s69, s62, s67
	s_mul_i32 s68, s62, s67
	s_mul_hi_u32 s2, s62, s66
	s_mul_i32 s31, s63, s66
	s_add_nc_u64 s[68:69], s[2:3], s[68:69]
	s_mul_hi_u32 s0, s63, s66
	s_mul_hi_u32 s70, s63, s67
	s_add_co_u32 s2, s68, s31
	s_add_co_ci_u32 s2, s69, s0
	s_mul_i32 s66, s63, s67
	s_add_co_ci_u32 s67, s70, 0
	s_delay_alu instid0(SALU_CYCLE_1) | instskip(NEXT) | instid1(SALU_CYCLE_1)
	s_add_nc_u64 s[66:67], s[2:3], s[66:67]
	s_add_co_u32 s62, s62, s66
	s_cselect_b32 s0, -1, 0
	s_delay_alu instid0(SALU_CYCLE_1) | instskip(SKIP_1) | instid1(SALU_CYCLE_1)
	s_cmp_lg_u32 s0, 0
	s_add_co_ci_u32 s63, s63, s67
	s_mul_u64 s[64:65], s[64:65], s[62:63]
	s_delay_alu instid0(SALU_CYCLE_1)
	s_mul_hi_u32 s67, s62, s65
	s_mul_i32 s66, s62, s65
	s_mul_hi_u32 s2, s62, s64
	s_mul_i32 s31, s63, s64
	s_add_nc_u64 s[66:67], s[2:3], s[66:67]
	s_mul_hi_u32 s0, s63, s64
	s_mul_hi_u32 s68, s63, s65
	s_add_co_u32 s2, s66, s31
	s_add_co_ci_u32 s2, s67, s0
	s_mul_i32 s64, s63, s65
	s_add_co_ci_u32 s65, s68, 0
	s_delay_alu instid0(SALU_CYCLE_1) | instskip(NEXT) | instid1(SALU_CYCLE_1)
	s_add_nc_u64 s[64:65], s[2:3], s[64:65]
	s_add_co_u32 s0, s62, s64
	s_cselect_b32 s2, -1, 0
	v_mul_hi_u32 v16, v8, s0
	s_cmp_lg_u32 s2, 0
	s_add_co_ci_u32 s2, s63, s65
	s_and_b64 s[62:63], s[0:1], s[28:29]
	v_mul_u64_e32 v[10:11], s[2:3], v[8:9]
	v_mul_u64_e32 v[6:7], s[62:63], v[12:13]
	;; [unrolled: 1-line block ×3, first 2 shown]
	s_delay_alu instid0(VALU_DEP_3) | instskip(NEXT) | instid1(VALU_DEP_1)
	v_add_nc_u64_e32 v[10:11], v[16:17], v[10:11]
	v_add_co_u32 v3, vcc_lo, v10, v6
	s_delay_alu instid0(VALU_DEP_2) | instskip(NEXT) | instid1(VALU_DEP_4)
	v_add_co_ci_u32_e32 v16, vcc_lo, v11, v7, vcc_lo
	v_add_co_ci_u32_e32 v15, vcc_lo, 0, v15, vcc_lo
	s_delay_alu instid0(VALU_DEP_1) | instskip(NEXT) | instid1(VALU_DEP_1)
	v_add_nc_u64_e32 v[6:7], v[16:17], v[14:15]
	v_mul_u64_e32 v[10:11], s[60:61], v[6:7]
	s_delay_alu instid0(VALU_DEP_1) | instskip(NEXT) | instid1(VALU_DEP_2)
	v_sub_nc_u32_e32 v3, v12, v11
	v_sub_co_u32 v5, vcc_lo, v8, v10
	s_delay_alu instid0(VALU_DEP_1) | instskip(NEXT) | instid1(VALU_DEP_3)
	v_sub_co_ci_u32_e64 v12, null, v12, v11, vcc_lo
	v_subrev_co_ci_u32_e64 v3, null, s61, v3, vcc_lo
	s_delay_alu instid0(VALU_DEP_3) | instskip(SKIP_1) | instid1(VALU_DEP_3)
	v_sub_co_u32 v8, s0, v5, s60
	v_add_nc_u64_e32 v[10:11], 1, v[6:7]
	v_subrev_co_ci_u32_e64 v3, null, 0, v3, s0
	s_delay_alu instid0(VALU_DEP_3) | instskip(SKIP_1) | instid1(VALU_DEP_3)
	v_cmp_le_u32_e32 vcc_lo, s60, v8
	v_cndmask_b32_e64 v8, 0, -1, vcc_lo
	v_cmp_le_u32_e32 vcc_lo, s61, v3
	v_cndmask_b32_e64 v9, 0, -1, vcc_lo
	;; [unrolled: 2-line block ×4, first 2 shown]
	v_cmp_eq_u32_e32 vcc_lo, s61, v3
	v_cndmask_b32_e32 v3, v9, v8, vcc_lo
	v_cmp_eq_u32_e32 vcc_lo, s61, v12
	v_add_nc_u64_e32 v[8:9], 2, v[6:7]
	v_cndmask_b32_e32 v5, v13, v5, vcc_lo
	s_delay_alu instid0(VALU_DEP_4) | instskip(NEXT) | instid1(VALU_DEP_2)
	v_cmp_ne_u32_e32 vcc_lo, 0, v3
	v_cmp_ne_u32_e64 s0, 0, v5
	s_delay_alu instid0(VALU_DEP_4) | instskip(NEXT) | instid1(VALU_DEP_1)
	v_dual_cndmask_b32 v3, v11, v9, vcc_lo :: v_dual_cndmask_b32 v5, v10, v8, vcc_lo
	v_dual_cndmask_b32 v6, v6, v5, s0 :: v_dual_mov_b32 v5, v4
	s_delay_alu instid0(VALU_DEP_1) | instskip(NEXT) | instid1(VALU_DEP_1)
	v_dual_cndmask_b32 v3, v7, v3, s0 :: v_dual_bitop2_b32 v6, v6, v4 bitop3:0x14
	v_xor_b32_e32 v7, v3, v4
	s_delay_alu instid0(VALU_DEP_1)
	v_sub_nc_u64_e32 v[4:5], v[6:7], v[4:5]
.LBB0_6:                                ;   in Loop: Header=BB0_4 Depth=1
	s_and_not1_saveexec_b32 s0, s1
	s_cbranch_execz .LBB0_8
; %bb.7:                                ;   in Loop: Header=BB0_4 Depth=1
	s_sub_co_i32 s1, 0, s4
	s_delay_alu instid0(SALU_CYCLE_1) | instskip(NEXT) | instid1(VALU_DEP_1)
	v_mul_lo_u32 v3, s1, v36
	v_mul_hi_u32 v3, v36, v3
	s_delay_alu instid0(VALU_DEP_1) | instskip(NEXT) | instid1(VALU_DEP_1)
	v_add_nc_u32_e32 v3, v36, v3
	v_mul_hi_u32 v3, v0, v3
	s_delay_alu instid0(VALU_DEP_1) | instskip(NEXT) | instid1(VALU_DEP_1)
	v_mul_lo_u32 v4, v3, s4
	v_dual_add_nc_u32 v5, 1, v3 :: v_dual_sub_nc_u32 v4, v0, v4
	s_delay_alu instid0(VALU_DEP_1) | instskip(SKIP_1) | instid1(VALU_DEP_2)
	v_subrev_nc_u32_e32 v6, s4, v4
	v_cmp_le_u32_e32 vcc_lo, s4, v4
	v_dual_cndmask_b32 v4, v4, v6 :: v_dual_cndmask_b32 v3, v3, v5
	s_delay_alu instid0(VALU_DEP_1) | instskip(NEXT) | instid1(VALU_DEP_2)
	v_cmp_le_u32_e32 vcc_lo, s4, v4
	v_add_nc_u32_e32 v5, 1, v3
	s_delay_alu instid0(VALU_DEP_1)
	v_dual_cndmask_b32 v4, v3, v5 :: v_dual_mov_b32 v5, v2
.LBB0_8:                                ;   in Loop: Header=BB0_4 Depth=1
	s_or_b32 exec_lo, exec_lo, s0
	s_delay_alu instid0(VALU_DEP_1) | instskip(SKIP_1) | instid1(VALU_DEP_1)
	v_mul_u64_e32 v[8:9], s[4:5], v[4:5]
                                        ; implicit-def: $vgpr16_vgpr17
	s_mov_b32 s0, exec_lo
	v_sub_nc_u64_e32 v[6:7], v[0:1], v[8:9]
	s_delay_alu instid0(VALU_DEP_1) | instskip(NEXT) | instid1(VALU_DEP_1)
	v_dual_ashrrev_i32 v10, 31, v7 :: v_dual_bitop2_b32 v3, s15, v7 bitop3:0x54
	v_cmpx_ne_u64_e32 0, v[2:3]
	s_xor_b32 s1, exec_lo, s0
	s_cbranch_execz .LBB0_10
; %bb.9:                                ;   in Loop: Header=BB0_4 Depth=1
	s_ashr_i32 s60, s15, 31
	v_dual_mov_b32 v11, v10 :: v_dual_mov_b32 v15, v2
	s_mov_b32 s61, s60
	v_mov_b32_e32 v19, v2
	s_add_nc_u64 s[62:63], s[14:15], s[60:61]
	s_delay_alu instid0(VALU_DEP_2)
	v_add_nc_u64_e32 v[12:13], v[6:7], v[10:11]
	s_xor_b64 s[62:63], s[62:63], s[60:61]
	v_mov_b32_e32 v23, v2
	s_cvt_f32_u32 s0, s62
	s_cvt_f32_u32 s2, s63
	s_sub_nc_u64 s[66:67], 0, s[62:63]
	s_delay_alu instid0(VALU_DEP_2) | instskip(NEXT) | instid1(SALU_CYCLE_1)
	v_xor_b32_e32 v14, v12, v10
	s_fmamk_f32 s0, s2, 0x4f800000, s0
	v_xor_b32_e32 v18, v13, v10
	s_delay_alu instid0(SALU_CYCLE_2) | instskip(NEXT) | instid1(TRANS32_DEP_1)
	v_s_rcp_f32 s0, s0
	s_mul_f32 s0, s0, 0x5f7ffffc
	s_delay_alu instid0(SALU_CYCLE_3) | instskip(NEXT) | instid1(SALU_CYCLE_3)
	s_mul_f32 s2, s0, 0x2f800000
	s_trunc_f32 s2, s2
	s_delay_alu instid0(SALU_CYCLE_3) | instskip(SKIP_1) | instid1(SALU_CYCLE_2)
	s_fmamk_f32 s0, s2, 0xcf800000, s0
	s_cvt_u32_f32 s65, s2
	s_cvt_u32_f32 s64, s0
	s_delay_alu instid0(SALU_CYCLE_3) | instskip(NEXT) | instid1(SALU_CYCLE_1)
	s_mul_u64 s[68:69], s[66:67], s[64:65]
	s_mul_hi_u32 s71, s64, s69
	s_mul_i32 s70, s64, s69
	s_mul_hi_u32 s2, s64, s68
	s_mul_i32 s31, s65, s68
	s_add_nc_u64 s[70:71], s[2:3], s[70:71]
	s_mul_hi_u32 s0, s65, s68
	s_mul_hi_u32 s61, s65, s69
	s_add_co_u32 s2, s70, s31
	s_add_co_ci_u32 s2, s71, s0
	s_mul_i32 s68, s65, s69
	s_add_co_ci_u32 s69, s61, 0
	s_delay_alu instid0(SALU_CYCLE_1) | instskip(NEXT) | instid1(SALU_CYCLE_1)
	s_add_nc_u64 s[68:69], s[2:3], s[68:69]
	s_add_co_u32 s64, s64, s68
	s_cselect_b32 s0, -1, 0
	s_delay_alu instid0(SALU_CYCLE_1) | instskip(SKIP_1) | instid1(SALU_CYCLE_1)
	s_cmp_lg_u32 s0, 0
	s_add_co_ci_u32 s65, s65, s69
	s_mul_u64 s[66:67], s[66:67], s[64:65]
	s_delay_alu instid0(SALU_CYCLE_1)
	s_mul_hi_u32 s69, s64, s67
	s_mul_i32 s68, s64, s67
	s_mul_hi_u32 s2, s64, s66
	s_mul_i32 s31, s65, s66
	s_add_nc_u64 s[68:69], s[2:3], s[68:69]
	s_mul_hi_u32 s0, s65, s66
	s_mul_hi_u32 s61, s65, s67
	s_add_co_u32 s2, s68, s31
	s_add_co_ci_u32 s2, s69, s0
	s_mul_i32 s66, s65, s67
	s_add_co_ci_u32 s67, s61, 0
	s_delay_alu instid0(SALU_CYCLE_1) | instskip(NEXT) | instid1(SALU_CYCLE_1)
	s_add_nc_u64 s[66:67], s[2:3], s[66:67]
	s_add_co_u32 s0, s64, s66
	s_cselect_b32 s2, -1, 0
	v_nop
	v_mul_hi_u32 v22, v14, s0
	s_cmp_lg_u32 s2, 0
	s_add_co_ci_u32 s2, s65, s67
	s_and_b64 s[64:65], s[0:1], s[28:29]
	v_mul_u64_e32 v[16:17], s[2:3], v[14:15]
	v_mul_u64_e32 v[12:13], s[64:65], v[18:19]
	v_mul_u64_e32 v[20:21], s[2:3], v[18:19]
	s_delay_alu instid0(VALU_DEP_3) | instskip(NEXT) | instid1(VALU_DEP_1)
	v_add_nc_u64_e32 v[16:17], v[22:23], v[16:17]
	v_add_co_u32 v3, vcc_lo, v16, v12
	s_delay_alu instid0(VALU_DEP_2) | instskip(NEXT) | instid1(VALU_DEP_4)
	v_add_co_ci_u32_e32 v22, vcc_lo, v17, v13, vcc_lo
	v_add_co_ci_u32_e32 v21, vcc_lo, 0, v21, vcc_lo
	s_delay_alu instid0(VALU_DEP_1) | instskip(NEXT) | instid1(VALU_DEP_1)
	v_add_nc_u64_e32 v[12:13], v[22:23], v[20:21]
	v_mul_u64_e32 v[16:17], s[62:63], v[12:13]
	s_delay_alu instid0(VALU_DEP_1) | instskip(NEXT) | instid1(VALU_DEP_2)
	v_sub_nc_u32_e32 v3, v18, v17
	v_sub_co_u32 v11, vcc_lo, v14, v16
	s_delay_alu instid0(VALU_DEP_1) | instskip(NEXT) | instid1(VALU_DEP_3)
	v_sub_co_ci_u32_e64 v18, null, v18, v17, vcc_lo
	v_subrev_co_ci_u32_e64 v3, null, s63, v3, vcc_lo
	s_delay_alu instid0(VALU_DEP_3) | instskip(SKIP_1) | instid1(VALU_DEP_3)
	v_sub_co_u32 v14, s0, v11, s62
	v_add_nc_u64_e32 v[16:17], 1, v[12:13]
	v_subrev_co_ci_u32_e64 v3, null, 0, v3, s0
	s_delay_alu instid0(VALU_DEP_3) | instskip(SKIP_1) | instid1(VALU_DEP_3)
	v_cmp_le_u32_e32 vcc_lo, s62, v14
	v_cndmask_b32_e64 v14, 0, -1, vcc_lo
	v_cmp_le_u32_e32 vcc_lo, s63, v3
	v_cndmask_b32_e64 v15, 0, -1, vcc_lo
	;; [unrolled: 2-line block ×4, first 2 shown]
	v_cmp_eq_u32_e32 vcc_lo, s63, v3
	v_cndmask_b32_e32 v3, v15, v14, vcc_lo
	v_cmp_eq_u32_e32 vcc_lo, s63, v18
	v_add_nc_u64_e32 v[14:15], 2, v[12:13]
	v_cndmask_b32_e32 v11, v19, v11, vcc_lo
	s_delay_alu instid0(VALU_DEP_4) | instskip(NEXT) | instid1(VALU_DEP_2)
	v_cmp_ne_u32_e32 vcc_lo, 0, v3
	v_cmp_ne_u32_e64 s0, 0, v11
	s_delay_alu instid0(VALU_DEP_4) | instskip(NEXT) | instid1(VALU_DEP_1)
	v_dual_cndmask_b32 v3, v17, v15, vcc_lo :: v_dual_cndmask_b32 v11, v16, v14, vcc_lo
	v_dual_cndmask_b32 v3, v13, v3, s0 :: v_dual_bitop2_b32 v14, s60, v10 bitop3:0x14
	s_delay_alu instid0(VALU_DEP_1) | instskip(NEXT) | instid1(VALU_DEP_2)
	v_dual_mov_b32 v15, v14 :: v_dual_cndmask_b32 v11, v12, v11, s0
	v_xor_b32_e32 v13, v3, v14
	s_delay_alu instid0(VALU_DEP_2) | instskip(NEXT) | instid1(VALU_DEP_1)
	v_xor_b32_e32 v12, v11, v14
	v_sub_nc_u64_e32 v[16:17], v[12:13], v[14:15]
.LBB0_10:                               ;   in Loop: Header=BB0_4 Depth=1
	s_and_not1_saveexec_b32 s0, s1
	s_cbranch_execz .LBB0_12
; %bb.11:                               ;   in Loop: Header=BB0_4 Depth=1
	v_cvt_f32_u32_e32 v3, s14
	s_sub_co_i32 s1, 0, s14
	v_mov_b32_e32 v17, v2
	s_delay_alu instid0(VALU_DEP_2) | instskip(SKIP_1) | instid1(TRANS32_DEP_1)
	v_rcp_iflag_f32_e32 v3, v3
	v_nop
	v_mul_f32_e32 v3, 0x4f7ffffe, v3
	s_delay_alu instid0(VALU_DEP_1) | instskip(NEXT) | instid1(VALU_DEP_1)
	v_cvt_u32_f32_e32 v3, v3
	v_mul_lo_u32 v11, s1, v3
	s_delay_alu instid0(VALU_DEP_1) | instskip(NEXT) | instid1(VALU_DEP_1)
	v_mul_hi_u32 v11, v3, v11
	v_add_nc_u32_e32 v3, v3, v11
	s_delay_alu instid0(VALU_DEP_1) | instskip(NEXT) | instid1(VALU_DEP_1)
	v_mul_hi_u32 v3, v6, v3
	v_mul_lo_u32 v11, v3, s14
	s_delay_alu instid0(VALU_DEP_1) | instskip(NEXT) | instid1(VALU_DEP_1)
	v_sub_nc_u32_e32 v11, v6, v11
	v_subrev_nc_u32_e32 v13, s14, v11
	v_cmp_le_u32_e32 vcc_lo, s14, v11
	s_delay_alu instid0(VALU_DEP_2) | instskip(NEXT) | instid1(VALU_DEP_1)
	v_dual_cndmask_b32 v11, v11, v13 :: v_dual_add_nc_u32 v12, 1, v3
	v_cndmask_b32_e32 v3, v3, v12, vcc_lo
	s_delay_alu instid0(VALU_DEP_2) | instskip(NEXT) | instid1(VALU_DEP_2)
	v_cmp_le_u32_e32 vcc_lo, s14, v11
	v_add_nc_u32_e32 v12, 1, v3
	s_delay_alu instid0(VALU_DEP_1)
	v_cndmask_b32_e32 v16, v3, v12, vcc_lo
.LBB0_12:                               ;   in Loop: Header=BB0_4 Depth=1
	s_or_b32 exec_lo, exec_lo, s0
	s_delay_alu instid0(VALU_DEP_1) | instskip(SKIP_1) | instid1(VALU_DEP_1)
	v_or_b32_e32 v3, s13, v17
                                        ; implicit-def: $vgpr12_vgpr13
	s_mov_b32 s0, exec_lo
	v_cmpx_ne_u64_e32 0, v[2:3]
	s_xor_b32 s1, exec_lo, s0
	s_cbranch_execz .LBB0_14
; %bb.13:                               ;   in Loop: Header=BB0_4 Depth=1
	s_ashr_i32 s60, s13, 31
	v_dual_mov_b32 v19, v2 :: v_dual_ashrrev_i32 v12, 31, v17
	s_mov_b32 s61, s60
	v_mov_b32_e32 v27, v2
	s_add_nc_u64 s[62:63], s[12:13], s[60:61]
	s_delay_alu instid0(VALU_DEP_2) | instskip(SKIP_1) | instid1(SALU_CYCLE_1)
	v_mov_b32_e32 v13, v12
	s_xor_b64 s[60:61], s[62:63], s[60:61]
	s_cvt_f32_u32 s0, s60
	s_cvt_f32_u32 s2, s61
	s_sub_nc_u64 s[64:65], 0, s[60:61]
	v_add_nc_u64_e32 v[14:15], v[16:17], v[12:13]
	v_mov_b32_e32 v23, v2
	s_fmamk_f32 s0, s2, 0x4f800000, s0
	s_delay_alu instid0(SALU_CYCLE_3) | instskip(NEXT) | instid1(VALU_DEP_2)
	v_s_rcp_f32 s0, s0
	v_xor_b32_e32 v18, v14, v12
	s_delay_alu instid0(VALU_DEP_3) | instskip(NEXT) | instid1(TRANS32_DEP_1)
	v_xor_b32_e32 v22, v15, v12
	s_mul_f32 s0, s0, 0x5f7ffffc
	s_delay_alu instid0(SALU_CYCLE_3) | instskip(NEXT) | instid1(SALU_CYCLE_3)
	s_mul_f32 s2, s0, 0x2f800000
	s_trunc_f32 s2, s2
	s_delay_alu instid0(SALU_CYCLE_3) | instskip(SKIP_1) | instid1(SALU_CYCLE_2)
	s_fmamk_f32 s0, s2, 0xcf800000, s0
	s_cvt_u32_f32 s63, s2
	s_cvt_u32_f32 s62, s0
	s_delay_alu instid0(SALU_CYCLE_3) | instskip(NEXT) | instid1(SALU_CYCLE_1)
	s_mul_u64 s[66:67], s[64:65], s[62:63]
	s_mul_hi_u32 s69, s62, s67
	s_mul_i32 s68, s62, s67
	s_mul_hi_u32 s2, s62, s66
	s_mul_i32 s31, s63, s66
	s_add_nc_u64 s[68:69], s[2:3], s[68:69]
	s_mul_hi_u32 s0, s63, s66
	s_mul_hi_u32 s70, s63, s67
	s_add_co_u32 s2, s68, s31
	s_add_co_ci_u32 s2, s69, s0
	s_mul_i32 s66, s63, s67
	s_add_co_ci_u32 s67, s70, 0
	s_delay_alu instid0(SALU_CYCLE_1) | instskip(NEXT) | instid1(SALU_CYCLE_1)
	s_add_nc_u64 s[66:67], s[2:3], s[66:67]
	s_add_co_u32 s62, s62, s66
	s_cselect_b32 s0, -1, 0
	s_delay_alu instid0(SALU_CYCLE_1) | instskip(SKIP_1) | instid1(SALU_CYCLE_1)
	s_cmp_lg_u32 s0, 0
	s_add_co_ci_u32 s63, s63, s67
	s_mul_u64 s[64:65], s[64:65], s[62:63]
	s_delay_alu instid0(SALU_CYCLE_1)
	s_mul_hi_u32 s67, s62, s65
	s_mul_i32 s66, s62, s65
	s_mul_hi_u32 s2, s62, s64
	s_mul_i32 s31, s63, s64
	s_add_nc_u64 s[66:67], s[2:3], s[66:67]
	s_mul_hi_u32 s0, s63, s64
	s_mul_hi_u32 s68, s63, s65
	s_add_co_u32 s2, s66, s31
	s_add_co_ci_u32 s2, s67, s0
	s_mul_i32 s64, s63, s65
	s_add_co_ci_u32 s65, s68, 0
	s_delay_alu instid0(SALU_CYCLE_1) | instskip(NEXT) | instid1(SALU_CYCLE_1)
	s_add_nc_u64 s[64:65], s[2:3], s[64:65]
	s_add_co_u32 s0, s62, s64
	s_cselect_b32 s2, -1, 0
	v_mul_hi_u32 v26, v18, s0
	s_cmp_lg_u32 s2, 0
	s_add_co_ci_u32 s2, s63, s65
	s_and_b64 s[62:63], s[0:1], s[28:29]
	v_mul_u64_e32 v[20:21], s[2:3], v[18:19]
	v_mul_u64_e32 v[14:15], s[62:63], v[22:23]
	;; [unrolled: 1-line block ×3, first 2 shown]
	s_delay_alu instid0(VALU_DEP_3) | instskip(NEXT) | instid1(VALU_DEP_1)
	v_add_nc_u64_e32 v[20:21], v[26:27], v[20:21]
	v_add_co_u32 v3, vcc_lo, v20, v14
	s_delay_alu instid0(VALU_DEP_2) | instskip(NEXT) | instid1(VALU_DEP_4)
	v_add_co_ci_u32_e32 v26, vcc_lo, v21, v15, vcc_lo
	v_add_co_ci_u32_e32 v25, vcc_lo, 0, v25, vcc_lo
	s_delay_alu instid0(VALU_DEP_1) | instskip(NEXT) | instid1(VALU_DEP_1)
	v_add_nc_u64_e32 v[14:15], v[26:27], v[24:25]
	v_mul_u64_e32 v[14:15], s[60:61], v[14:15]
	s_delay_alu instid0(VALU_DEP_1) | instskip(NEXT) | instid1(VALU_DEP_2)
	v_sub_nc_u32_e32 v3, v22, v15
	v_sub_co_u32 v11, vcc_lo, v18, v14
	s_delay_alu instid0(VALU_DEP_1) | instskip(NEXT) | instid1(VALU_DEP_3)
	v_sub_co_ci_u32_e64 v14, null, v22, v15, vcc_lo
	v_subrev_co_ci_u32_e64 v3, null, s61, v3, vcc_lo
	s_delay_alu instid0(VALU_DEP_3) | instskip(SKIP_1) | instid1(VALU_DEP_3)
	v_sub_co_u32 v15, vcc_lo, v11, s60
	v_cmp_le_u32_e64 s0, s60, v11
	v_subrev_co_ci_u32_e64 v18, null, 0, v3, vcc_lo
	v_subrev_co_ci_u32_e64 v3, null, s61, v3, vcc_lo
	s_delay_alu instid0(VALU_DEP_3) | instskip(SKIP_2) | instid1(VALU_DEP_2)
	v_cndmask_b32_e64 v19, 0, -1, s0
	v_cmp_le_u32_e64 s0, s60, v15
	v_cmp_le_u32_e32 vcc_lo, s61, v14
	v_cndmask_b32_e64 v20, 0, -1, s0
	v_cmp_le_u32_e64 s0, s61, v18
	v_cndmask_b32_e64 v22, 0, -1, vcc_lo
	v_cmp_eq_u32_e32 vcc_lo, s61, v18
	s_delay_alu instid0(VALU_DEP_3) | instskip(SKIP_1) | instid1(VALU_DEP_2)
	v_cndmask_b32_e64 v21, 0, -1, s0
	v_cmp_eq_u32_e64 s0, s61, v14
	v_cndmask_b32_e32 v20, v21, v20, vcc_lo
	v_sub_co_u32 v21, vcc_lo, v15, s60
	s_delay_alu instid0(VALU_DEP_1) | instskip(NEXT) | instid1(VALU_DEP_3)
	v_subrev_co_ci_u32_e64 v3, null, 0, v3, vcc_lo
	v_cmp_ne_u32_e32 vcc_lo, 0, v20
	v_cndmask_b32_e64 v19, v22, v19, s0
	s_delay_alu instid0(VALU_DEP_3) | instskip(NEXT) | instid1(VALU_DEP_2)
	v_dual_cndmask_b32 v3, v18, v3, vcc_lo :: v_dual_cndmask_b32 v15, v15, v21, vcc_lo
	v_cmp_ne_u32_e32 vcc_lo, 0, v19
	s_delay_alu instid0(VALU_DEP_2) | instskip(NEXT) | instid1(VALU_DEP_3)
	v_cndmask_b32_e32 v3, v14, v3, vcc_lo
	v_cndmask_b32_e32 v11, v11, v15, vcc_lo
	s_delay_alu instid0(VALU_DEP_2) | instskip(NEXT) | instid1(VALU_DEP_2)
	v_xor_b32_e32 v15, v3, v12
	v_xor_b32_e32 v14, v11, v12
	s_delay_alu instid0(VALU_DEP_1)
	v_sub_nc_u64_e32 v[12:13], v[14:15], v[12:13]
.LBB0_14:                               ;   in Loop: Header=BB0_4 Depth=1
	s_and_not1_saveexec_b32 s0, s1
	s_cbranch_execz .LBB0_16
; %bb.15:                               ;   in Loop: Header=BB0_4 Depth=1
	v_cvt_f32_u32_e32 v3, s12
	s_sub_co_i32 s1, 0, s12
	v_mov_b32_e32 v13, v2
	s_delay_alu instid0(VALU_DEP_2) | instskip(SKIP_1) | instid1(TRANS32_DEP_1)
	v_rcp_iflag_f32_e32 v3, v3
	v_nop
	v_mul_f32_e32 v3, 0x4f7ffffe, v3
	s_delay_alu instid0(VALU_DEP_1) | instskip(NEXT) | instid1(VALU_DEP_1)
	v_cvt_u32_f32_e32 v3, v3
	v_mul_lo_u32 v11, s1, v3
	s_delay_alu instid0(VALU_DEP_1) | instskip(NEXT) | instid1(VALU_DEP_1)
	v_mul_hi_u32 v11, v3, v11
	v_add_nc_u32_e32 v3, v3, v11
	s_delay_alu instid0(VALU_DEP_1) | instskip(NEXT) | instid1(VALU_DEP_1)
	v_mul_hi_u32 v3, v16, v3
	v_mul_lo_u32 v3, v3, s12
	s_delay_alu instid0(VALU_DEP_1) | instskip(NEXT) | instid1(VALU_DEP_1)
	v_sub_nc_u32_e32 v3, v16, v3
	v_subrev_nc_u32_e32 v11, s12, v3
	v_cmp_le_u32_e32 vcc_lo, s12, v3
	s_delay_alu instid0(VALU_DEP_2) | instskip(NEXT) | instid1(VALU_DEP_1)
	v_cndmask_b32_e32 v3, v3, v11, vcc_lo
	v_subrev_nc_u32_e32 v11, s12, v3
	v_cmp_le_u32_e32 vcc_lo, s12, v3
	s_delay_alu instid0(VALU_DEP_2)
	v_cndmask_b32_e32 v12, v3, v11, vcc_lo
.LBB0_16:                               ;   in Loop: Header=BB0_4 Depth=1
	s_or_b32 exec_lo, exec_lo, s0
	v_or_b32_e32 v3, s25, v7
                                        ; implicit-def: $vgpr14_vgpr15
	s_mov_b32 s0, exec_lo
	s_delay_alu instid0(VALU_DEP_1)
	v_cmpx_ne_u64_e32 0, v[2:3]
	s_xor_b32 s1, exec_lo, s0
	s_cbranch_execz .LBB0_18
; %bb.17:                               ;   in Loop: Header=BB0_4 Depth=1
	s_ashr_i32 s60, s25, 31
	v_dual_mov_b32 v11, v10 :: v_dual_mov_b32 v19, v2
	s_mov_b32 s61, s60
	v_mov_b32_e32 v27, v2
	s_add_nc_u64 s[62:63], s[24:25], s[60:61]
	s_delay_alu instid0(VALU_DEP_2)
	v_add_nc_u64_e32 v[14:15], v[6:7], v[10:11]
	s_xor_b64 s[62:63], s[62:63], s[60:61]
	v_mov_b32_e32 v23, v2
	s_cvt_f32_u32 s0, s62
	s_cvt_f32_u32 s2, s63
	s_sub_nc_u64 s[66:67], 0, s[62:63]
	s_delay_alu instid0(VALU_DEP_2) | instskip(NEXT) | instid1(SALU_CYCLE_1)
	v_xor_b32_e32 v18, v14, v10
	s_fmamk_f32 s0, s2, 0x4f800000, s0
	v_xor_b32_e32 v22, v15, v10
	v_xor_b32_e32 v10, s60, v10
	s_delay_alu instid0(SALU_CYCLE_1) | instskip(NEXT) | instid1(TRANS32_DEP_1)
	v_s_rcp_f32 s0, s0
	s_mul_f32 s0, s0, 0x5f7ffffc
	s_delay_alu instid0(SALU_CYCLE_3) | instskip(NEXT) | instid1(SALU_CYCLE_3)
	s_mul_f32 s2, s0, 0x2f800000
	s_trunc_f32 s2, s2
	s_delay_alu instid0(SALU_CYCLE_3) | instskip(SKIP_1) | instid1(SALU_CYCLE_2)
	s_fmamk_f32 s0, s2, 0xcf800000, s0
	s_cvt_u32_f32 s65, s2
	s_cvt_u32_f32 s64, s0
	s_delay_alu instid0(SALU_CYCLE_3) | instskip(NEXT) | instid1(SALU_CYCLE_1)
	s_mul_u64 s[68:69], s[66:67], s[64:65]
	s_mul_hi_u32 s71, s64, s69
	s_mul_i32 s70, s64, s69
	s_mul_hi_u32 s2, s64, s68
	s_mul_i32 s31, s65, s68
	s_add_nc_u64 s[70:71], s[2:3], s[70:71]
	s_mul_hi_u32 s0, s65, s68
	s_mul_hi_u32 s61, s65, s69
	s_add_co_u32 s2, s70, s31
	s_add_co_ci_u32 s2, s71, s0
	s_mul_i32 s68, s65, s69
	s_add_co_ci_u32 s69, s61, 0
	s_delay_alu instid0(SALU_CYCLE_1) | instskip(NEXT) | instid1(SALU_CYCLE_1)
	s_add_nc_u64 s[68:69], s[2:3], s[68:69]
	s_add_co_u32 s64, s64, s68
	s_cselect_b32 s0, -1, 0
	s_delay_alu instid0(SALU_CYCLE_1) | instskip(SKIP_1) | instid1(SALU_CYCLE_1)
	s_cmp_lg_u32 s0, 0
	s_add_co_ci_u32 s65, s65, s69
	s_mul_u64 s[66:67], s[66:67], s[64:65]
	s_delay_alu instid0(SALU_CYCLE_1)
	s_mul_hi_u32 s69, s64, s67
	s_mul_i32 s68, s64, s67
	s_mul_hi_u32 s2, s64, s66
	s_mul_i32 s31, s65, s66
	s_add_nc_u64 s[68:69], s[2:3], s[68:69]
	s_mul_hi_u32 s0, s65, s66
	s_mul_hi_u32 s61, s65, s67
	s_add_co_u32 s2, s68, s31
	s_add_co_ci_u32 s2, s69, s0
	s_mul_i32 s66, s65, s67
	s_add_co_ci_u32 s67, s61, 0
	s_delay_alu instid0(SALU_CYCLE_1) | instskip(NEXT) | instid1(SALU_CYCLE_1)
	s_add_nc_u64 s[66:67], s[2:3], s[66:67]
	s_add_co_u32 s0, s64, s66
	s_cselect_b32 s2, -1, 0
	v_nop
	v_mul_hi_u32 v26, v18, s0
	s_cmp_lg_u32 s2, 0
	s_add_co_ci_u32 s2, s65, s67
	s_and_b64 s[64:65], s[0:1], s[28:29]
	v_mul_u64_e32 v[20:21], s[2:3], v[18:19]
	v_mul_u64_e32 v[14:15], s[64:65], v[22:23]
	;; [unrolled: 1-line block ×3, first 2 shown]
	s_delay_alu instid0(VALU_DEP_3) | instskip(NEXT) | instid1(VALU_DEP_1)
	v_add_nc_u64_e32 v[20:21], v[26:27], v[20:21]
	v_add_co_u32 v3, vcc_lo, v20, v14
	s_delay_alu instid0(VALU_DEP_2) | instskip(NEXT) | instid1(VALU_DEP_4)
	v_add_co_ci_u32_e32 v26, vcc_lo, v21, v15, vcc_lo
	v_add_co_ci_u32_e32 v25, vcc_lo, 0, v25, vcc_lo
	s_delay_alu instid0(VALU_DEP_1) | instskip(NEXT) | instid1(VALU_DEP_1)
	v_add_nc_u64_e32 v[14:15], v[26:27], v[24:25]
	v_mul_u64_e32 v[20:21], s[62:63], v[14:15]
	s_delay_alu instid0(VALU_DEP_1) | instskip(NEXT) | instid1(VALU_DEP_2)
	v_sub_nc_u32_e32 v3, v22, v21
	v_sub_co_u32 v11, vcc_lo, v18, v20
	s_delay_alu instid0(VALU_DEP_1) | instskip(NEXT) | instid1(VALU_DEP_3)
	v_sub_co_ci_u32_e64 v22, null, v22, v21, vcc_lo
	v_subrev_co_ci_u32_e64 v3, null, s63, v3, vcc_lo
	s_delay_alu instid0(VALU_DEP_3) | instskip(SKIP_1) | instid1(VALU_DEP_3)
	v_sub_co_u32 v18, s0, v11, s62
	v_add_nc_u64_e32 v[20:21], 1, v[14:15]
	v_subrev_co_ci_u32_e64 v3, null, 0, v3, s0
	s_delay_alu instid0(VALU_DEP_3) | instskip(SKIP_1) | instid1(VALU_DEP_3)
	v_cmp_le_u32_e32 vcc_lo, s62, v18
	v_cndmask_b32_e64 v18, 0, -1, vcc_lo
	v_cmp_le_u32_e32 vcc_lo, s63, v3
	v_cndmask_b32_e64 v19, 0, -1, vcc_lo
	;; [unrolled: 2-line block ×4, first 2 shown]
	v_cmp_eq_u32_e32 vcc_lo, s63, v3
	v_cndmask_b32_e32 v3, v19, v18, vcc_lo
	v_cmp_eq_u32_e32 vcc_lo, s63, v22
	v_add_nc_u64_e32 v[18:19], 2, v[14:15]
	v_cndmask_b32_e32 v11, v23, v11, vcc_lo
	s_delay_alu instid0(VALU_DEP_4) | instskip(NEXT) | instid1(VALU_DEP_2)
	v_cmp_ne_u32_e32 vcc_lo, 0, v3
	v_cmp_ne_u32_e64 s0, 0, v11
	s_delay_alu instid0(VALU_DEP_4) | instskip(NEXT) | instid1(VALU_DEP_1)
	v_dual_cndmask_b32 v3, v21, v19, vcc_lo :: v_dual_cndmask_b32 v11, v20, v18, vcc_lo
	v_cndmask_b32_e64 v3, v15, v3, s0
	s_delay_alu instid0(VALU_DEP_2) | instskip(NEXT) | instid1(VALU_DEP_2)
	v_cndmask_b32_e64 v14, v14, v11, s0
	v_dual_mov_b32 v11, v10 :: v_dual_bitop2_b32 v15, v3, v10 bitop3:0x14
	s_delay_alu instid0(VALU_DEP_2) | instskip(NEXT) | instid1(VALU_DEP_1)
	v_xor_b32_e32 v14, v14, v10
	v_sub_nc_u64_e32 v[14:15], v[14:15], v[10:11]
.LBB0_18:                               ;   in Loop: Header=BB0_4 Depth=1
	s_and_not1_saveexec_b32 s0, s1
	s_cbranch_execz .LBB0_20
; %bb.19:                               ;   in Loop: Header=BB0_4 Depth=1
	v_cvt_f32_u32_e32 v3, s24
	s_sub_co_i32 s1, 0, s24
	v_mov_b32_e32 v15, v2
	s_delay_alu instid0(VALU_DEP_2) | instskip(SKIP_1) | instid1(TRANS32_DEP_1)
	v_rcp_iflag_f32_e32 v3, v3
	v_nop
	v_mul_f32_e32 v3, 0x4f7ffffe, v3
	s_delay_alu instid0(VALU_DEP_1) | instskip(NEXT) | instid1(VALU_DEP_1)
	v_cvt_u32_f32_e32 v3, v3
	v_mul_lo_u32 v10, s1, v3
	s_delay_alu instid0(VALU_DEP_1) | instskip(NEXT) | instid1(VALU_DEP_1)
	v_mul_hi_u32 v10, v3, v10
	v_add_nc_u32_e32 v3, v3, v10
	s_delay_alu instid0(VALU_DEP_1) | instskip(NEXT) | instid1(VALU_DEP_1)
	v_mul_hi_u32 v3, v6, v3
	v_mul_lo_u32 v10, v3, s24
	s_delay_alu instid0(VALU_DEP_1) | instskip(NEXT) | instid1(VALU_DEP_1)
	v_sub_nc_u32_e32 v10, v6, v10
	v_subrev_nc_u32_e32 v14, s24, v10
	v_cmp_le_u32_e32 vcc_lo, s24, v10
	s_delay_alu instid0(VALU_DEP_2) | instskip(NEXT) | instid1(VALU_DEP_1)
	v_dual_cndmask_b32 v10, v10, v14 :: v_dual_add_nc_u32 v11, 1, v3
	v_cndmask_b32_e32 v3, v3, v11, vcc_lo
	s_delay_alu instid0(VALU_DEP_2) | instskip(NEXT) | instid1(VALU_DEP_2)
	v_cmp_le_u32_e32 vcc_lo, s24, v10
	v_add_nc_u32_e32 v11, 1, v3
	s_delay_alu instid0(VALU_DEP_1)
	v_cndmask_b32_e32 v14, v3, v11, vcc_lo
.LBB0_20:                               ;   in Loop: Header=BB0_4 Depth=1
	s_or_b32 exec_lo, exec_lo, s0
	v_mul_u64_e32 v[16:17], s[14:15], v[16:17]
	s_mov_b32 s1, exec_lo
	s_delay_alu instid0(VALU_DEP_1) | instskip(NEXT) | instid1(VALU_DEP_1)
	v_sub_nc_u64_e32 v[10:11], v[6:7], v[16:17]
	v_add_nc_u64_e32 v[18:19], s[38:39], v[10:11]
	v_mov_b64_e32 v[10:11], 0
	s_delay_alu instid0(VALU_DEP_2)
	v_cmpx_lt_i64_e64 s[34:35], v[18:19]
	s_cbranch_execz .LBB0_26
; %bb.21:                               ;   in Loop: Header=BB0_4 Depth=1
	v_add_nc_u64_e32 v[10:11], s[58:59], v[18:19]
                                        ; implicit-def: $vgpr20_vgpr21
	s_mov_b32 s0, exec_lo
	s_delay_alu instid0(VALU_DEP_1) | instskip(NEXT) | instid1(VALU_DEP_1)
	v_or_b32_e32 v3, s43, v11
	v_cmpx_ne_u64_e32 0, v[2:3]
	s_xor_b32 s31, exec_lo, s0
	s_cbranch_execz .LBB0_23
; %bb.22:                               ;   in Loop: Header=BB0_4 Depth=1
	s_ashr_i32 s60, s43, 31
	v_dual_mov_b32 v23, v2 :: v_dual_ashrrev_i32 v20, 31, v11
	s_mov_b32 s61, s60
	v_mov_b32_e32 v31, v2
	s_add_nc_u64 s[62:63], s[42:43], s[60:61]
	s_delay_alu instid0(VALU_DEP_2) | instskip(SKIP_1) | instid1(SALU_CYCLE_1)
	v_mov_b32_e32 v21, v20
	s_xor_b64 s[62:63], s[62:63], s[60:61]
	s_cvt_f32_u32 s0, s62
	s_cvt_f32_u32 s2, s63
	s_sub_nc_u64 s[66:67], 0, s[62:63]
	v_add_nc_u64_e32 v[10:11], v[10:11], v[20:21]
	v_mov_b32_e32 v27, v2
	s_fmamk_f32 s0, s2, 0x4f800000, s0
	s_delay_alu instid0(SALU_CYCLE_3) | instskip(NEXT) | instid1(VALU_DEP_2)
	v_s_rcp_f32 s0, s0
	v_xor_b32_e32 v22, v10, v20
	s_delay_alu instid0(VALU_DEP_3) | instskip(NEXT) | instid1(TRANS32_DEP_1)
	v_xor_b32_e32 v26, v11, v20
	s_mul_f32 s0, s0, 0x5f7ffffc
	s_delay_alu instid0(SALU_CYCLE_3) | instskip(NEXT) | instid1(SALU_CYCLE_3)
	s_mul_f32 s2, s0, 0x2f800000
	s_trunc_f32 s2, s2
	s_delay_alu instid0(SALU_CYCLE_3) | instskip(SKIP_1) | instid1(SALU_CYCLE_2)
	s_fmamk_f32 s0, s2, 0xcf800000, s0
	s_cvt_u32_f32 s65, s2
	s_cvt_u32_f32 s64, s0
	s_delay_alu instid0(SALU_CYCLE_3) | instskip(NEXT) | instid1(SALU_CYCLE_1)
	s_mul_u64 s[68:69], s[66:67], s[64:65]
	s_mul_hi_u32 s71, s64, s69
	s_mul_i32 s70, s64, s69
	s_mul_hi_u32 s2, s64, s68
	s_mul_i32 s61, s65, s68
	s_add_nc_u64 s[70:71], s[2:3], s[70:71]
	s_mul_hi_u32 s0, s65, s68
	s_mul_hi_u32 s72, s65, s69
	s_add_co_u32 s2, s70, s61
	s_add_co_ci_u32 s2, s71, s0
	s_mul_i32 s68, s65, s69
	s_add_co_ci_u32 s69, s72, 0
	s_delay_alu instid0(SALU_CYCLE_1) | instskip(NEXT) | instid1(SALU_CYCLE_1)
	s_add_nc_u64 s[68:69], s[2:3], s[68:69]
	s_add_co_u32 s64, s64, s68
	s_cselect_b32 s0, -1, 0
	s_delay_alu instid0(SALU_CYCLE_1) | instskip(SKIP_1) | instid1(SALU_CYCLE_1)
	s_cmp_lg_u32 s0, 0
	s_add_co_ci_u32 s65, s65, s69
	s_mul_u64 s[66:67], s[66:67], s[64:65]
	s_delay_alu instid0(SALU_CYCLE_1)
	s_mul_hi_u32 s69, s64, s67
	s_mul_i32 s68, s64, s67
	s_mul_hi_u32 s2, s64, s66
	s_mul_i32 s61, s65, s66
	s_add_nc_u64 s[68:69], s[2:3], s[68:69]
	s_mul_hi_u32 s0, s65, s66
	s_mul_hi_u32 s70, s65, s67
	s_add_co_u32 s2, s68, s61
	s_add_co_ci_u32 s2, s69, s0
	s_mul_i32 s66, s65, s67
	s_add_co_ci_u32 s67, s70, 0
	s_delay_alu instid0(SALU_CYCLE_1) | instskip(NEXT) | instid1(SALU_CYCLE_1)
	s_add_nc_u64 s[66:67], s[2:3], s[66:67]
	s_add_co_u32 s0, s64, s66
	s_cselect_b32 s2, -1, 0
	v_mul_hi_u32 v30, v22, s0
	s_cmp_lg_u32 s2, 0
	s_add_co_ci_u32 s2, s65, s67
	s_and_b64 s[64:65], s[0:1], s[28:29]
	v_mul_u64_e32 v[24:25], s[2:3], v[22:23]
	v_mul_u64_e32 v[10:11], s[64:65], v[26:27]
	;; [unrolled: 1-line block ×3, first 2 shown]
	s_delay_alu instid0(VALU_DEP_3) | instskip(NEXT) | instid1(VALU_DEP_1)
	v_add_nc_u64_e32 v[24:25], v[30:31], v[24:25]
	v_add_co_u32 v3, vcc_lo, v24, v10
	s_delay_alu instid0(VALU_DEP_2) | instskip(NEXT) | instid1(VALU_DEP_4)
	v_add_co_ci_u32_e32 v30, vcc_lo, v25, v11, vcc_lo
	v_add_co_ci_u32_e32 v29, vcc_lo, 0, v29, vcc_lo
	s_delay_alu instid0(VALU_DEP_1) | instskip(NEXT) | instid1(VALU_DEP_1)
	v_add_nc_u64_e32 v[10:11], v[30:31], v[28:29]
	v_mul_u64_e32 v[24:25], s[62:63], v[10:11]
	s_delay_alu instid0(VALU_DEP_1) | instskip(NEXT) | instid1(VALU_DEP_2)
	v_sub_nc_u32_e32 v3, v26, v25
	v_sub_co_u32 v21, vcc_lo, v22, v24
	s_delay_alu instid0(VALU_DEP_1) | instskip(NEXT) | instid1(VALU_DEP_3)
	v_sub_co_ci_u32_e64 v26, null, v26, v25, vcc_lo
	v_subrev_co_ci_u32_e64 v3, null, s63, v3, vcc_lo
	s_delay_alu instid0(VALU_DEP_3) | instskip(SKIP_1) | instid1(VALU_DEP_3)
	v_sub_co_u32 v22, s0, v21, s62
	v_add_nc_u64_e32 v[24:25], 1, v[10:11]
	v_subrev_co_ci_u32_e64 v3, null, 0, v3, s0
	s_delay_alu instid0(VALU_DEP_3) | instskip(SKIP_1) | instid1(VALU_DEP_3)
	v_cmp_le_u32_e32 vcc_lo, s62, v22
	v_cndmask_b32_e64 v22, 0, -1, vcc_lo
	v_cmp_le_u32_e32 vcc_lo, s63, v3
	v_cndmask_b32_e64 v23, 0, -1, vcc_lo
	;; [unrolled: 2-line block ×4, first 2 shown]
	v_cmp_eq_u32_e32 vcc_lo, s63, v3
	v_cndmask_b32_e32 v3, v23, v22, vcc_lo
	v_cmp_eq_u32_e32 vcc_lo, s63, v26
	v_add_nc_u64_e32 v[22:23], 2, v[10:11]
	v_cndmask_b32_e32 v21, v27, v21, vcc_lo
	s_delay_alu instid0(VALU_DEP_4) | instskip(NEXT) | instid1(VALU_DEP_3)
	v_cmp_ne_u32_e32 vcc_lo, 0, v3
	v_cndmask_b32_e32 v3, v25, v23, vcc_lo
	s_delay_alu instid0(VALU_DEP_3) | instskip(SKIP_1) | instid1(VALU_DEP_1)
	v_cmp_ne_u32_e64 s0, 0, v21
	v_dual_cndmask_b32 v21, v24, v22, vcc_lo :: v_dual_bitop2_b32 v20, s60, v20 bitop3:0x14
	v_dual_cndmask_b32 v3, v11, v3, s0 :: v_dual_cndmask_b32 v10, v10, v21, s0
	s_delay_alu instid0(VALU_DEP_1) | instskip(NEXT) | instid1(VALU_DEP_2)
	v_dual_mov_b32 v21, v20 :: v_dual_bitop2_b32 v11, v3, v20 bitop3:0x14
	v_xor_b32_e32 v10, v10, v20
	s_delay_alu instid0(VALU_DEP_1)
	v_sub_nc_u64_e32 v[20:21], v[10:11], v[20:21]
                                        ; implicit-def: $vgpr10_vgpr11
.LBB0_23:                               ;   in Loop: Header=BB0_4 Depth=1
	s_and_not1_saveexec_b32 s0, s31
	s_cbranch_execz .LBB0_25
; %bb.24:                               ;   in Loop: Header=BB0_4 Depth=1
	v_cvt_f32_u32_e32 v3, s42
	s_sub_co_i32 s2, 0, s42
	v_mov_b32_e32 v21, v2
	s_delay_alu instid0(VALU_DEP_2) | instskip(SKIP_1) | instid1(TRANS32_DEP_1)
	v_rcp_iflag_f32_e32 v3, v3
	v_nop
	v_mul_f32_e32 v3, 0x4f7ffffe, v3
	s_delay_alu instid0(VALU_DEP_1) | instskip(NEXT) | instid1(VALU_DEP_1)
	v_cvt_u32_f32_e32 v3, v3
	v_mul_lo_u32 v11, s2, v3
	s_delay_alu instid0(VALU_DEP_1) | instskip(NEXT) | instid1(VALU_DEP_1)
	v_mul_hi_u32 v11, v3, v11
	v_add_nc_u32_e32 v3, v3, v11
	s_delay_alu instid0(VALU_DEP_1) | instskip(NEXT) | instid1(VALU_DEP_1)
	v_mul_hi_u32 v3, v10, v3
	v_mul_lo_u32 v11, v3, s42
	s_delay_alu instid0(VALU_DEP_1) | instskip(SKIP_1) | instid1(VALU_DEP_2)
	v_sub_nc_u32_e32 v10, v10, v11
	v_add_nc_u32_e32 v11, 1, v3
	v_subrev_nc_u32_e32 v20, s42, v10
	v_cmp_le_u32_e32 vcc_lo, s42, v10
	s_delay_alu instid0(VALU_DEP_2) | instskip(NEXT) | instid1(VALU_DEP_1)
	v_dual_cndmask_b32 v10, v10, v20 :: v_dual_cndmask_b32 v3, v3, v11
	v_cmp_le_u32_e32 vcc_lo, s42, v10
	s_delay_alu instid0(VALU_DEP_2) | instskip(NEXT) | instid1(VALU_DEP_1)
	v_add_nc_u32_e32 v11, 1, v3
	v_cndmask_b32_e32 v20, v3, v11, vcc_lo
.LBB0_25:                               ;   in Loop: Header=BB0_4 Depth=1
	s_or_b32 exec_lo, exec_lo, s0
	s_delay_alu instid0(VALU_DEP_1)
	v_add_nc_u64_e32 v[10:11], 1, v[20:21]
.LBB0_26:                               ;   in Loop: Header=BB0_4 Depth=1
	s_or_b32 exec_lo, exec_lo, s1
	v_or_b32_e32 v3, s43, v19
                                        ; implicit-def: $vgpr24_vgpr25
	s_mov_b32 s0, exec_lo
	s_delay_alu instid0(VALU_DEP_1)
	v_cmpx_ne_u64_e32 0, v[2:3]
	s_xor_b32 s1, exec_lo, s0
	s_cbranch_execz .LBB0_28
; %bb.27:                               ;   in Loop: Header=BB0_4 Depth=1
	s_ashr_i32 s60, s43, 31
	v_dual_mov_b32 v23, v2 :: v_dual_ashrrev_i32 v20, 31, v19
	s_mov_b32 s61, s60
	v_mov_b32_e32 v31, v2
	s_add_nc_u64 s[62:63], s[42:43], s[60:61]
	s_delay_alu instid0(VALU_DEP_2) | instskip(SKIP_1) | instid1(SALU_CYCLE_1)
	v_mov_b32_e32 v21, v20
	s_xor_b64 s[62:63], s[62:63], s[60:61]
	s_cvt_f32_u32 s0, s62
	s_cvt_f32_u32 s2, s63
	s_sub_nc_u64 s[66:67], 0, s[62:63]
	v_add_nc_u64_e32 v[18:19], v[18:19], v[20:21]
	v_mov_b32_e32 v27, v2
	s_fmamk_f32 s0, s2, 0x4f800000, s0
	s_delay_alu instid0(SALU_CYCLE_3) | instskip(NEXT) | instid1(VALU_DEP_2)
	v_s_rcp_f32 s0, s0
	v_xor_b32_e32 v22, v18, v20
	s_delay_alu instid0(VALU_DEP_3) | instskip(NEXT) | instid1(TRANS32_DEP_1)
	v_xor_b32_e32 v26, v19, v20
	s_mul_f32 s0, s0, 0x5f7ffffc
	s_delay_alu instid0(SALU_CYCLE_3) | instskip(NEXT) | instid1(SALU_CYCLE_3)
	s_mul_f32 s2, s0, 0x2f800000
	s_trunc_f32 s2, s2
	s_delay_alu instid0(SALU_CYCLE_3) | instskip(SKIP_1) | instid1(SALU_CYCLE_2)
	s_fmamk_f32 s0, s2, 0xcf800000, s0
	s_cvt_u32_f32 s65, s2
	s_cvt_u32_f32 s64, s0
	s_delay_alu instid0(SALU_CYCLE_3) | instskip(NEXT) | instid1(SALU_CYCLE_1)
	s_mul_u64 s[68:69], s[66:67], s[64:65]
	s_mul_hi_u32 s71, s64, s69
	s_mul_i32 s70, s64, s69
	s_mul_hi_u32 s2, s64, s68
	s_mul_i32 s31, s65, s68
	s_add_nc_u64 s[70:71], s[2:3], s[70:71]
	s_mul_hi_u32 s0, s65, s68
	s_mul_hi_u32 s61, s65, s69
	s_add_co_u32 s2, s70, s31
	s_add_co_ci_u32 s2, s71, s0
	s_mul_i32 s68, s65, s69
	s_add_co_ci_u32 s69, s61, 0
	s_delay_alu instid0(SALU_CYCLE_1) | instskip(NEXT) | instid1(SALU_CYCLE_1)
	s_add_nc_u64 s[68:69], s[2:3], s[68:69]
	s_add_co_u32 s64, s64, s68
	s_cselect_b32 s0, -1, 0
	s_delay_alu instid0(SALU_CYCLE_1) | instskip(SKIP_1) | instid1(SALU_CYCLE_1)
	s_cmp_lg_u32 s0, 0
	s_add_co_ci_u32 s65, s65, s69
	s_mul_u64 s[66:67], s[66:67], s[64:65]
	s_delay_alu instid0(SALU_CYCLE_1)
	s_mul_hi_u32 s69, s64, s67
	s_mul_i32 s68, s64, s67
	s_mul_hi_u32 s2, s64, s66
	s_mul_i32 s31, s65, s66
	s_add_nc_u64 s[68:69], s[2:3], s[68:69]
	s_mul_hi_u32 s0, s65, s66
	s_mul_hi_u32 s61, s65, s67
	s_add_co_u32 s2, s68, s31
	s_add_co_ci_u32 s2, s69, s0
	s_mul_i32 s66, s65, s67
	s_add_co_ci_u32 s67, s61, 0
	s_delay_alu instid0(SALU_CYCLE_1) | instskip(NEXT) | instid1(SALU_CYCLE_1)
	s_add_nc_u64 s[66:67], s[2:3], s[66:67]
	s_add_co_u32 s0, s64, s66
	s_cselect_b32 s2, -1, 0
	v_mul_hi_u32 v30, v22, s0
	s_cmp_lg_u32 s2, 0
	s_add_co_ci_u32 s2, s65, s67
	s_and_b64 s[64:65], s[0:1], s[28:29]
	v_mul_u64_e32 v[24:25], s[2:3], v[22:23]
	v_mul_u64_e32 v[18:19], s[64:65], v[26:27]
	;; [unrolled: 1-line block ×3, first 2 shown]
	s_delay_alu instid0(VALU_DEP_3) | instskip(NEXT) | instid1(VALU_DEP_1)
	v_add_nc_u64_e32 v[24:25], v[30:31], v[24:25]
	v_add_co_u32 v3, vcc_lo, v24, v18
	s_delay_alu instid0(VALU_DEP_2) | instskip(NEXT) | instid1(VALU_DEP_4)
	v_add_co_ci_u32_e32 v30, vcc_lo, v25, v19, vcc_lo
	v_add_co_ci_u32_e32 v29, vcc_lo, 0, v29, vcc_lo
	s_delay_alu instid0(VALU_DEP_1) | instskip(NEXT) | instid1(VALU_DEP_1)
	v_add_nc_u64_e32 v[18:19], v[30:31], v[28:29]
	v_mul_u64_e32 v[24:25], s[62:63], v[18:19]
	s_delay_alu instid0(VALU_DEP_1) | instskip(NEXT) | instid1(VALU_DEP_2)
	v_sub_nc_u32_e32 v3, v26, v25
	v_sub_co_u32 v21, vcc_lo, v22, v24
	s_delay_alu instid0(VALU_DEP_1) | instskip(NEXT) | instid1(VALU_DEP_3)
	v_sub_co_ci_u32_e64 v26, null, v26, v25, vcc_lo
	v_subrev_co_ci_u32_e64 v3, null, s63, v3, vcc_lo
	s_delay_alu instid0(VALU_DEP_3) | instskip(SKIP_1) | instid1(VALU_DEP_3)
	v_sub_co_u32 v22, s0, v21, s62
	v_add_nc_u64_e32 v[24:25], 1, v[18:19]
	v_subrev_co_ci_u32_e64 v3, null, 0, v3, s0
	s_delay_alu instid0(VALU_DEP_3) | instskip(SKIP_1) | instid1(VALU_DEP_3)
	v_cmp_le_u32_e32 vcc_lo, s62, v22
	v_cndmask_b32_e64 v22, 0, -1, vcc_lo
	v_cmp_le_u32_e32 vcc_lo, s63, v3
	v_cndmask_b32_e64 v23, 0, -1, vcc_lo
	;; [unrolled: 2-line block ×4, first 2 shown]
	v_cmp_eq_u32_e32 vcc_lo, s63, v3
	v_cndmask_b32_e32 v3, v23, v22, vcc_lo
	v_cmp_eq_u32_e32 vcc_lo, s63, v26
	v_add_nc_u64_e32 v[22:23], 2, v[18:19]
	v_cndmask_b32_e32 v21, v27, v21, vcc_lo
	s_delay_alu instid0(VALU_DEP_4) | instskip(NEXT) | instid1(VALU_DEP_3)
	v_cmp_ne_u32_e32 vcc_lo, 0, v3
	v_cndmask_b32_e32 v3, v25, v23, vcc_lo
	s_delay_alu instid0(VALU_DEP_3) | instskip(SKIP_1) | instid1(VALU_DEP_1)
	v_cmp_ne_u32_e64 s0, 0, v21
	v_dual_cndmask_b32 v21, v24, v22, vcc_lo :: v_dual_bitop2_b32 v20, s60, v20 bitop3:0x14
	v_dual_cndmask_b32 v3, v19, v3, s0 :: v_dual_cndmask_b32 v18, v18, v21, s0
	s_delay_alu instid0(VALU_DEP_1) | instskip(NEXT) | instid1(VALU_DEP_2)
	v_dual_mov_b32 v21, v20 :: v_dual_bitop2_b32 v19, v3, v20 bitop3:0x14
	v_xor_b32_e32 v18, v18, v20
	s_delay_alu instid0(VALU_DEP_1)
	v_sub_nc_u64_e32 v[24:25], v[18:19], v[20:21]
                                        ; implicit-def: $vgpr18_vgpr19
.LBB0_28:                               ;   in Loop: Header=BB0_4 Depth=1
	s_and_not1_saveexec_b32 s0, s1
	s_cbranch_execz .LBB0_30
; %bb.29:                               ;   in Loop: Header=BB0_4 Depth=1
	v_cvt_f32_u32_e32 v3, s42
	s_sub_co_i32 s1, 0, s42
	v_mov_b32_e32 v25, v2
	s_delay_alu instid0(VALU_DEP_2) | instskip(SKIP_1) | instid1(TRANS32_DEP_1)
	v_rcp_iflag_f32_e32 v3, v3
	v_nop
	v_mul_f32_e32 v3, 0x4f7ffffe, v3
	s_delay_alu instid0(VALU_DEP_1) | instskip(NEXT) | instid1(VALU_DEP_1)
	v_cvt_u32_f32_e32 v3, v3
	v_mul_lo_u32 v19, s1, v3
	s_delay_alu instid0(VALU_DEP_1) | instskip(NEXT) | instid1(VALU_DEP_1)
	v_mul_hi_u32 v19, v3, v19
	v_add_nc_u32_e32 v3, v3, v19
	s_delay_alu instid0(VALU_DEP_1) | instskip(NEXT) | instid1(VALU_DEP_1)
	v_mul_hi_u32 v3, v18, v3
	v_mul_lo_u32 v19, v3, s42
	s_delay_alu instid0(VALU_DEP_1) | instskip(SKIP_1) | instid1(VALU_DEP_2)
	v_sub_nc_u32_e32 v18, v18, v19
	v_add_nc_u32_e32 v19, 1, v3
	v_subrev_nc_u32_e32 v20, s42, v18
	v_cmp_le_u32_e32 vcc_lo, s42, v18
	s_delay_alu instid0(VALU_DEP_2) | instskip(NEXT) | instid1(VALU_DEP_1)
	v_dual_cndmask_b32 v18, v18, v20 :: v_dual_cndmask_b32 v3, v3, v19
	v_cmp_le_u32_e32 vcc_lo, s42, v18
	s_delay_alu instid0(VALU_DEP_2) | instskip(NEXT) | instid1(VALU_DEP_1)
	v_add_nc_u32_e32 v19, 1, v3
	v_cndmask_b32_e32 v24, v3, v19, vcc_lo
.LBB0_30:                               ;   in Loop: Header=BB0_4 Depth=1
	s_or_b32 exec_lo, exec_lo, s0
	v_add_nc_u64_e32 v[12:13], s[36:37], v[12:13]
	v_mov_b64_e32 v[18:19], 0
	s_mov_b32 s1, exec_lo
	s_delay_alu instid0(VALU_DEP_2)
	v_cmpx_lt_i64_e64 s[52:53], v[12:13]
	s_cbranch_execz .LBB0_36
; %bb.31:                               ;   in Loop: Header=BB0_4 Depth=1
	v_add_nc_u64_e32 v[18:19], s[56:57], v[12:13]
                                        ; implicit-def: $vgpr20_vgpr21
	s_mov_b32 s0, exec_lo
	s_delay_alu instid0(VALU_DEP_1) | instskip(NEXT) | instid1(VALU_DEP_1)
	v_or_b32_e32 v3, s41, v19
	v_cmpx_ne_u64_e32 0, v[2:3]
	s_xor_b32 s31, exec_lo, s0
	s_cbranch_execz .LBB0_33
; %bb.32:                               ;   in Loop: Header=BB0_4 Depth=1
	s_ashr_i32 s60, s41, 31
	v_dual_mov_b32 v23, v2 :: v_dual_ashrrev_i32 v20, 31, v19
	s_mov_b32 s61, s60
	s_delay_alu instid0(SALU_CYCLE_1) | instskip(NEXT) | instid1(VALU_DEP_1)
	s_add_nc_u64 s[62:63], s[40:41], s[60:61]
	v_mov_b32_e32 v21, v20
	s_xor_b64 s[62:63], s[62:63], s[60:61]
	s_delay_alu instid0(SALU_CYCLE_1)
	s_cvt_f32_u32 s0, s62
	s_cvt_f32_u32 s2, s63
	s_sub_nc_u64 s[66:67], 0, s[62:63]
	v_add_nc_u64_e32 v[18:19], v[18:19], v[20:21]
	v_mov_b32_e32 v29, v2
	s_fmamk_f32 s0, s2, 0x4f800000, s0
	s_delay_alu instid0(SALU_CYCLE_3) | instskip(NEXT) | instid1(VALU_DEP_2)
	v_s_rcp_f32 s0, s0
	v_xor_b32_e32 v22, v18, v20
	s_delay_alu instid0(VALU_DEP_3) | instskip(NEXT) | instid1(TRANS32_DEP_1)
	v_dual_mov_b32 v33, v2 :: v_dual_bitop2_b32 v28, v19, v20 bitop3:0x14
	s_mul_f32 s0, s0, 0x5f7ffffc
	s_delay_alu instid0(SALU_CYCLE_3) | instskip(NEXT) | instid1(SALU_CYCLE_3)
	s_mul_f32 s2, s0, 0x2f800000
	s_trunc_f32 s2, s2
	s_delay_alu instid0(SALU_CYCLE_3) | instskip(SKIP_1) | instid1(SALU_CYCLE_2)
	s_fmamk_f32 s0, s2, 0xcf800000, s0
	s_cvt_u32_f32 s65, s2
	s_cvt_u32_f32 s64, s0
	s_delay_alu instid0(SALU_CYCLE_3) | instskip(NEXT) | instid1(SALU_CYCLE_1)
	s_mul_u64 s[68:69], s[66:67], s[64:65]
	s_mul_hi_u32 s71, s64, s69
	s_mul_i32 s70, s64, s69
	s_mul_hi_u32 s2, s64, s68
	s_mul_i32 s61, s65, s68
	s_add_nc_u64 s[70:71], s[2:3], s[70:71]
	s_mul_hi_u32 s0, s65, s68
	s_mul_hi_u32 s72, s65, s69
	s_add_co_u32 s2, s70, s61
	s_add_co_ci_u32 s2, s71, s0
	s_mul_i32 s68, s65, s69
	s_add_co_ci_u32 s69, s72, 0
	s_delay_alu instid0(SALU_CYCLE_1) | instskip(NEXT) | instid1(SALU_CYCLE_1)
	s_add_nc_u64 s[68:69], s[2:3], s[68:69]
	s_add_co_u32 s64, s64, s68
	s_cselect_b32 s0, -1, 0
	s_delay_alu instid0(SALU_CYCLE_1) | instskip(SKIP_1) | instid1(SALU_CYCLE_1)
	s_cmp_lg_u32 s0, 0
	s_add_co_ci_u32 s65, s65, s69
	s_mul_u64 s[66:67], s[66:67], s[64:65]
	s_delay_alu instid0(SALU_CYCLE_1)
	s_mul_hi_u32 s69, s64, s67
	s_mul_i32 s68, s64, s67
	s_mul_hi_u32 s2, s64, s66
	s_mul_i32 s61, s65, s66
	s_add_nc_u64 s[68:69], s[2:3], s[68:69]
	s_mul_hi_u32 s0, s65, s66
	s_mul_hi_u32 s70, s65, s67
	s_add_co_u32 s2, s68, s61
	s_add_co_ci_u32 s2, s69, s0
	s_mul_i32 s66, s65, s67
	s_add_co_ci_u32 s67, s70, 0
	s_delay_alu instid0(SALU_CYCLE_1) | instskip(NEXT) | instid1(SALU_CYCLE_1)
	s_add_nc_u64 s[66:67], s[2:3], s[66:67]
	s_add_co_u32 s0, s64, s66
	s_cselect_b32 s2, -1, 0
	v_mul_hi_u32 v32, v22, s0
	s_cmp_lg_u32 s2, 0
	s_add_co_ci_u32 s2, s65, s67
	s_and_b64 s[64:65], s[0:1], s[28:29]
	v_mul_u64_e32 v[26:27], s[2:3], v[22:23]
	v_mul_u64_e32 v[18:19], s[64:65], v[28:29]
	;; [unrolled: 1-line block ×3, first 2 shown]
	s_delay_alu instid0(VALU_DEP_3) | instskip(NEXT) | instid1(VALU_DEP_1)
	v_add_nc_u64_e32 v[26:27], v[32:33], v[26:27]
	v_add_co_u32 v3, vcc_lo, v26, v18
	s_delay_alu instid0(VALU_DEP_2) | instskip(NEXT) | instid1(VALU_DEP_4)
	v_add_co_ci_u32_e32 v32, vcc_lo, v27, v19, vcc_lo
	v_add_co_ci_u32_e32 v31, vcc_lo, 0, v31, vcc_lo
	s_delay_alu instid0(VALU_DEP_1) | instskip(NEXT) | instid1(VALU_DEP_1)
	v_add_nc_u64_e32 v[18:19], v[32:33], v[30:31]
	v_mul_u64_e32 v[26:27], s[62:63], v[18:19]
	s_delay_alu instid0(VALU_DEP_1) | instskip(NEXT) | instid1(VALU_DEP_2)
	v_sub_nc_u32_e32 v3, v28, v27
	v_sub_co_u32 v21, vcc_lo, v22, v26
	s_delay_alu instid0(VALU_DEP_1) | instskip(NEXT) | instid1(VALU_DEP_3)
	v_sub_co_ci_u32_e64 v28, null, v28, v27, vcc_lo
	v_subrev_co_ci_u32_e64 v3, null, s63, v3, vcc_lo
	s_delay_alu instid0(VALU_DEP_3) | instskip(SKIP_1) | instid1(VALU_DEP_3)
	v_sub_co_u32 v22, s0, v21, s62
	v_add_nc_u64_e32 v[26:27], 1, v[18:19]
	v_subrev_co_ci_u32_e64 v3, null, 0, v3, s0
	s_delay_alu instid0(VALU_DEP_3) | instskip(SKIP_1) | instid1(VALU_DEP_3)
	v_cmp_le_u32_e32 vcc_lo, s62, v22
	v_cndmask_b32_e64 v22, 0, -1, vcc_lo
	v_cmp_le_u32_e32 vcc_lo, s63, v3
	v_cndmask_b32_e64 v23, 0, -1, vcc_lo
	;; [unrolled: 2-line block ×4, first 2 shown]
	v_cmp_eq_u32_e32 vcc_lo, s63, v3
	v_cndmask_b32_e32 v3, v23, v22, vcc_lo
	v_cmp_eq_u32_e32 vcc_lo, s63, v28
	v_add_nc_u64_e32 v[22:23], 2, v[18:19]
	v_cndmask_b32_e32 v21, v29, v21, vcc_lo
	s_delay_alu instid0(VALU_DEP_4) | instskip(NEXT) | instid1(VALU_DEP_2)
	v_cmp_ne_u32_e32 vcc_lo, 0, v3
	v_cmp_ne_u32_e64 s0, 0, v21
	s_delay_alu instid0(VALU_DEP_4) | instskip(NEXT) | instid1(VALU_DEP_1)
	v_dual_cndmask_b32 v3, v27, v23, vcc_lo :: v_dual_cndmask_b32 v21, v26, v22, vcc_lo
	v_dual_cndmask_b32 v3, v19, v3, s0 :: v_dual_bitop2_b32 v20, s60, v20 bitop3:0x14
	s_delay_alu instid0(VALU_DEP_1) | instskip(NEXT) | instid1(VALU_DEP_2)
	v_dual_cndmask_b32 v18, v18, v21, s0 :: v_dual_mov_b32 v21, v20
	v_xor_b32_e32 v19, v3, v20
	s_delay_alu instid0(VALU_DEP_2) | instskip(NEXT) | instid1(VALU_DEP_1)
	v_xor_b32_e32 v18, v18, v20
	v_sub_nc_u64_e32 v[20:21], v[18:19], v[20:21]
                                        ; implicit-def: $vgpr18_vgpr19
.LBB0_33:                               ;   in Loop: Header=BB0_4 Depth=1
	s_and_not1_saveexec_b32 s0, s31
	s_cbranch_execz .LBB0_35
; %bb.34:                               ;   in Loop: Header=BB0_4 Depth=1
	v_cvt_f32_u32_e32 v3, s40
	s_sub_co_i32 s2, 0, s40
	v_mov_b32_e32 v21, v2
	s_delay_alu instid0(VALU_DEP_2) | instskip(SKIP_1) | instid1(TRANS32_DEP_1)
	v_rcp_iflag_f32_e32 v3, v3
	v_nop
	v_mul_f32_e32 v3, 0x4f7ffffe, v3
	s_delay_alu instid0(VALU_DEP_1) | instskip(NEXT) | instid1(VALU_DEP_1)
	v_cvt_u32_f32_e32 v3, v3
	v_mul_lo_u32 v19, s2, v3
	s_delay_alu instid0(VALU_DEP_1) | instskip(NEXT) | instid1(VALU_DEP_1)
	v_mul_hi_u32 v19, v3, v19
	v_add_nc_u32_e32 v3, v3, v19
	s_delay_alu instid0(VALU_DEP_1) | instskip(NEXT) | instid1(VALU_DEP_1)
	v_mul_hi_u32 v3, v18, v3
	v_mul_lo_u32 v19, v3, s40
	s_delay_alu instid0(VALU_DEP_1) | instskip(SKIP_1) | instid1(VALU_DEP_2)
	v_sub_nc_u32_e32 v18, v18, v19
	v_add_nc_u32_e32 v19, 1, v3
	v_subrev_nc_u32_e32 v20, s40, v18
	v_cmp_le_u32_e32 vcc_lo, s40, v18
	s_delay_alu instid0(VALU_DEP_2) | instskip(NEXT) | instid1(VALU_DEP_1)
	v_dual_cndmask_b32 v18, v18, v20 :: v_dual_cndmask_b32 v3, v3, v19
	v_cmp_le_u32_e32 vcc_lo, s40, v18
	s_delay_alu instid0(VALU_DEP_2) | instskip(NEXT) | instid1(VALU_DEP_1)
	v_add_nc_u32_e32 v19, 1, v3
	v_cndmask_b32_e32 v20, v3, v19, vcc_lo
.LBB0_35:                               ;   in Loop: Header=BB0_4 Depth=1
	s_or_b32 exec_lo, exec_lo, s0
	s_delay_alu instid0(VALU_DEP_1)
	v_add_nc_u64_e32 v[18:19], 1, v[20:21]
.LBB0_36:                               ;   in Loop: Header=BB0_4 Depth=1
	s_or_b32 exec_lo, exec_lo, s1
	v_or_b32_e32 v3, s41, v13
                                        ; implicit-def: $vgpr20_vgpr21
	s_mov_b32 s0, exec_lo
	s_delay_alu instid0(VALU_DEP_1)
	v_cmpx_ne_u64_e32 0, v[2:3]
	s_xor_b32 s1, exec_lo, s0
	s_cbranch_execz .LBB0_38
; %bb.37:                               ;   in Loop: Header=BB0_4 Depth=1
	s_ashr_i32 s60, s41, 31
	v_dual_mov_b32 v27, v2 :: v_dual_ashrrev_i32 v20, 31, v13
	s_mov_b32 s61, s60
	v_mov_b32_e32 v35, v2
	s_add_nc_u64 s[62:63], s[40:41], s[60:61]
	s_delay_alu instid0(VALU_DEP_2) | instskip(SKIP_1) | instid1(SALU_CYCLE_1)
	v_mov_b32_e32 v21, v20
	s_xor_b64 s[62:63], s[62:63], s[60:61]
	s_cvt_f32_u32 s0, s62
	s_cvt_f32_u32 s2, s63
	s_sub_nc_u64 s[66:67], 0, s[62:63]
	v_add_nc_u64_e32 v[22:23], v[12:13], v[20:21]
	v_mov_b32_e32 v31, v2
	s_fmamk_f32 s0, s2, 0x4f800000, s0
	s_delay_alu instid0(SALU_CYCLE_3) | instskip(NEXT) | instid1(VALU_DEP_2)
	v_s_rcp_f32 s0, s0
	v_xor_b32_e32 v26, v22, v20
	s_delay_alu instid0(VALU_DEP_3) | instskip(NEXT) | instid1(TRANS32_DEP_1)
	v_xor_b32_e32 v30, v23, v20
	s_mul_f32 s0, s0, 0x5f7ffffc
	s_delay_alu instid0(SALU_CYCLE_3) | instskip(NEXT) | instid1(SALU_CYCLE_3)
	s_mul_f32 s2, s0, 0x2f800000
	s_trunc_f32 s2, s2
	s_delay_alu instid0(SALU_CYCLE_3) | instskip(SKIP_1) | instid1(SALU_CYCLE_2)
	s_fmamk_f32 s0, s2, 0xcf800000, s0
	s_cvt_u32_f32 s65, s2
	s_cvt_u32_f32 s64, s0
	s_delay_alu instid0(SALU_CYCLE_3) | instskip(NEXT) | instid1(SALU_CYCLE_1)
	s_mul_u64 s[68:69], s[66:67], s[64:65]
	s_mul_hi_u32 s71, s64, s69
	s_mul_i32 s70, s64, s69
	s_mul_hi_u32 s2, s64, s68
	s_mul_i32 s31, s65, s68
	s_add_nc_u64 s[70:71], s[2:3], s[70:71]
	s_mul_hi_u32 s0, s65, s68
	s_mul_hi_u32 s61, s65, s69
	s_add_co_u32 s2, s70, s31
	s_add_co_ci_u32 s2, s71, s0
	s_mul_i32 s68, s65, s69
	s_add_co_ci_u32 s69, s61, 0
	s_delay_alu instid0(SALU_CYCLE_1) | instskip(NEXT) | instid1(SALU_CYCLE_1)
	s_add_nc_u64 s[68:69], s[2:3], s[68:69]
	s_add_co_u32 s64, s64, s68
	s_cselect_b32 s0, -1, 0
	s_delay_alu instid0(SALU_CYCLE_1) | instskip(SKIP_1) | instid1(SALU_CYCLE_1)
	s_cmp_lg_u32 s0, 0
	s_add_co_ci_u32 s65, s65, s69
	s_mul_u64 s[66:67], s[66:67], s[64:65]
	s_delay_alu instid0(SALU_CYCLE_1)
	s_mul_hi_u32 s69, s64, s67
	s_mul_i32 s68, s64, s67
	s_mul_hi_u32 s2, s64, s66
	s_mul_i32 s31, s65, s66
	s_add_nc_u64 s[68:69], s[2:3], s[68:69]
	s_mul_hi_u32 s0, s65, s66
	s_mul_hi_u32 s61, s65, s67
	s_add_co_u32 s2, s68, s31
	s_add_co_ci_u32 s2, s69, s0
	s_mul_i32 s66, s65, s67
	s_add_co_ci_u32 s67, s61, 0
	s_delay_alu instid0(SALU_CYCLE_1) | instskip(NEXT) | instid1(SALU_CYCLE_1)
	s_add_nc_u64 s[66:67], s[2:3], s[66:67]
	s_add_co_u32 s0, s64, s66
	s_cselect_b32 s2, -1, 0
	v_mul_hi_u32 v34, v26, s0
	s_cmp_lg_u32 s2, 0
	s_add_co_ci_u32 s2, s65, s67
	s_and_b64 s[64:65], s[0:1], s[28:29]
	v_mul_u64_e32 v[28:29], s[2:3], v[26:27]
	v_mul_u64_e32 v[22:23], s[64:65], v[30:31]
	v_mul_u64_e32 v[32:33], s[2:3], v[30:31]
	s_delay_alu instid0(VALU_DEP_3) | instskip(NEXT) | instid1(VALU_DEP_1)
	v_add_nc_u64_e32 v[28:29], v[34:35], v[28:29]
	v_add_co_u32 v3, vcc_lo, v28, v22
	s_delay_alu instid0(VALU_DEP_2) | instskip(NEXT) | instid1(VALU_DEP_4)
	v_add_co_ci_u32_e32 v34, vcc_lo, v29, v23, vcc_lo
	v_add_co_ci_u32_e32 v33, vcc_lo, 0, v33, vcc_lo
	s_delay_alu instid0(VALU_DEP_1) | instskip(NEXT) | instid1(VALU_DEP_1)
	v_add_nc_u64_e32 v[22:23], v[34:35], v[32:33]
	v_mul_u64_e32 v[28:29], s[62:63], v[22:23]
	s_delay_alu instid0(VALU_DEP_1) | instskip(NEXT) | instid1(VALU_DEP_2)
	v_sub_nc_u32_e32 v3, v30, v29
	v_sub_co_u32 v21, vcc_lo, v26, v28
	s_delay_alu instid0(VALU_DEP_1) | instskip(NEXT) | instid1(VALU_DEP_3)
	v_sub_co_ci_u32_e64 v30, null, v30, v29, vcc_lo
	v_subrev_co_ci_u32_e64 v3, null, s63, v3, vcc_lo
	s_delay_alu instid0(VALU_DEP_3) | instskip(SKIP_1) | instid1(VALU_DEP_3)
	v_sub_co_u32 v26, s0, v21, s62
	v_add_nc_u64_e32 v[28:29], 1, v[22:23]
	v_subrev_co_ci_u32_e64 v3, null, 0, v3, s0
	s_delay_alu instid0(VALU_DEP_3) | instskip(SKIP_1) | instid1(VALU_DEP_3)
	v_cmp_le_u32_e32 vcc_lo, s62, v26
	v_cndmask_b32_e64 v26, 0, -1, vcc_lo
	v_cmp_le_u32_e32 vcc_lo, s63, v3
	v_cndmask_b32_e64 v27, 0, -1, vcc_lo
	;; [unrolled: 2-line block ×4, first 2 shown]
	v_cmp_eq_u32_e32 vcc_lo, s63, v3
	v_cndmask_b32_e32 v3, v27, v26, vcc_lo
	v_cmp_eq_u32_e32 vcc_lo, s63, v30
	v_add_nc_u64_e32 v[26:27], 2, v[22:23]
	v_cndmask_b32_e32 v21, v31, v21, vcc_lo
	s_delay_alu instid0(VALU_DEP_4) | instskip(NEXT) | instid1(VALU_DEP_3)
	v_cmp_ne_u32_e32 vcc_lo, 0, v3
	v_cndmask_b32_e32 v3, v29, v27, vcc_lo
	s_delay_alu instid0(VALU_DEP_3) | instskip(SKIP_1) | instid1(VALU_DEP_1)
	v_cmp_ne_u32_e64 s0, 0, v21
	v_dual_cndmask_b32 v21, v28, v26, vcc_lo :: v_dual_bitop2_b32 v20, s60, v20 bitop3:0x14
	v_dual_cndmask_b32 v3, v23, v3, s0 :: v_dual_cndmask_b32 v22, v22, v21, s0
	s_delay_alu instid0(VALU_DEP_1) | instskip(NEXT) | instid1(VALU_DEP_2)
	v_dual_mov_b32 v21, v20 :: v_dual_bitop2_b32 v23, v3, v20 bitop3:0x14
	v_xor_b32_e32 v22, v22, v20
	s_delay_alu instid0(VALU_DEP_1)
	v_sub_nc_u64_e32 v[20:21], v[22:23], v[20:21]
.LBB0_38:                               ;   in Loop: Header=BB0_4 Depth=1
	s_and_not1_saveexec_b32 s0, s1
	s_cbranch_execz .LBB0_40
; %bb.39:                               ;   in Loop: Header=BB0_4 Depth=1
	v_cvt_f32_u32_e32 v3, s40
	s_sub_co_i32 s1, 0, s40
	s_delay_alu instid0(VALU_DEP_1) | instskip(SKIP_1) | instid1(TRANS32_DEP_1)
	v_rcp_iflag_f32_e32 v3, v3
	v_nop
	v_mul_f32_e32 v3, 0x4f7ffffe, v3
	s_delay_alu instid0(VALU_DEP_1) | instskip(NEXT) | instid1(VALU_DEP_1)
	v_cvt_u32_f32_e32 v3, v3
	v_mul_lo_u32 v20, s1, v3
	s_delay_alu instid0(VALU_DEP_1) | instskip(NEXT) | instid1(VALU_DEP_1)
	v_mul_hi_u32 v20, v3, v20
	v_add_nc_u32_e32 v3, v3, v20
	s_delay_alu instid0(VALU_DEP_1) | instskip(NEXT) | instid1(VALU_DEP_1)
	v_mul_hi_u32 v3, v12, v3
	v_mul_lo_u32 v20, v3, s40
	s_delay_alu instid0(VALU_DEP_1) | instskip(NEXT) | instid1(VALU_DEP_1)
	v_dual_add_nc_u32 v21, 1, v3 :: v_dual_sub_nc_u32 v20, v12, v20
	v_subrev_nc_u32_e32 v22, s40, v20
	v_cmp_le_u32_e32 vcc_lo, s40, v20
	s_delay_alu instid0(VALU_DEP_2) | instskip(NEXT) | instid1(VALU_DEP_1)
	v_dual_cndmask_b32 v20, v20, v22 :: v_dual_cndmask_b32 v3, v3, v21
	v_cmp_le_u32_e32 vcc_lo, s40, v20
	s_delay_alu instid0(VALU_DEP_2) | instskip(NEXT) | instid1(VALU_DEP_1)
	v_add_nc_u32_e32 v21, 1, v3
	v_dual_cndmask_b32 v20, v3, v21 :: v_dual_mov_b32 v21, v2
.LBB0_40:                               ;   in Loop: Header=BB0_4 Depth=1
	s_or_b32 exec_lo, exec_lo, s0
	s_delay_alu instid0(VALU_DEP_1) | instskip(SKIP_2) | instid1(VALU_DEP_2)
	v_add_nc_u64_e32 v[20:21], 1, v[20:21]
	v_mov_b64_e32 v[22:23], 0
	s_mov_b32 s31, exec_lo
	v_min_i64 v[20:21], v[20:21], s[48:49]
	s_delay_alu instid0(VALU_DEP_1)
	v_cmpx_lt_i64_e64 v[18:19], v[20:21]
	s_cbranch_execz .LBB0_3
; %bb.41:                               ;   in Loop: Header=BB0_4 Depth=1
	v_mul_u64_e32 v[22:23], s[42:43], v[10:11]
	v_lshlrev_b64_e32 v[26:27], 3, v[10:11]
	v_add_nc_u64_e32 v[24:25], 1, v[24:25]
	v_mul_u64_e32 v[14:15], s[16:17], v[14:15]
	v_add_nc_u64_e32 v[28:29], s[38:39], v[0:1]
	s_mov_b32 s64, 0
	s_delay_alu instid0(VALU_DEP_4) | instskip(NEXT) | instid1(VALU_DEP_4)
	v_mad_nc_u64_u32 v[26:27], s8, v4, v[26:27]
	v_min_i64 v[24:25], v[24:25], s[50:51]
	s_delay_alu instid0(VALU_DEP_2) | instskip(NEXT) | instid1(VALU_DEP_1)
	v_mad_u32 v3, s9, v4, v27
	v_mad_u32 v27, s8, v5, v3
	v_sub_nc_u64_e32 v[22:23], v[28:29], v[22:23]
	s_delay_alu instid0(VALU_DEP_1) | instskip(SKIP_1) | instid1(VALU_DEP_4)
	v_sub_nc_u64_e32 v[22:23], v[22:23], v[16:17]
	v_cmp_lt_i64_e64 s0, v[10:11], v[24:25]
	v_add_nc_u64_e32 v[16:17], s[6:7], v[26:27]
	s_delay_alu instid0(VALU_DEP_3)
	v_sub_nc_u64_e32 v[8:9], v[22:23], v[8:9]
	v_mov_b64_e32 v[22:23], 0
	s_branch .LBB0_44
.LBB0_42:                               ;   in Loop: Header=BB0_44 Depth=2
	s_or_b32 exec_lo, exec_lo, s66
.LBB0_43:                               ;   in Loop: Header=BB0_44 Depth=2
	s_delay_alu instid0(SALU_CYCLE_1) | instskip(SKIP_1) | instid1(VALU_DEP_1)
	s_or_b32 exec_lo, exec_lo, s65
	v_add_nc_u64_e32 v[18:19], 1, v[18:19]
	v_cmp_ge_i64_e32 vcc_lo, v[18:19], v[20:21]
	s_or_b32 s64, vcc_lo, s64
	s_delay_alu instid0(SALU_CYCLE_1)
	s_and_not1_b32 exec_lo, exec_lo, s64
	s_cbranch_execz .LBB0_2
.LBB0_44:                               ;   Parent Loop BB0_4 Depth=1
                                        ; =>  This Loop Header: Depth=2
                                        ;       Child Loop BB0_52 Depth 3
	s_delay_alu instid0(VALU_DEP_4)
	s_and_saveexec_b32 s65, s0
	s_cbranch_execz .LBB0_43
; %bb.45:                               ;   in Loop: Header=BB0_44 Depth=2
	v_mul_u64_e32 v[26:27], s[40:41], v[18:19]
	s_mov_b32 s1, exec_lo
	s_delay_alu instid0(VALU_DEP_1) | instskip(NEXT) | instid1(VALU_DEP_1)
	v_sub_nc_u64_e32 v[28:29], v[12:13], v[26:27]
                                        ; implicit-def: $vgpr26_vgpr27
	v_or_b32_e32 v3, s45, v29
	s_delay_alu instid0(VALU_DEP_1)
	v_cmpx_ne_u64_e32 0, v[2:3]
	s_xor_b32 s66, exec_lo, s1
	s_cbranch_execz .LBB0_47
; %bb.46:                               ;   in Loop: Header=BB0_44 Depth=2
	s_ashr_i32 s60, s45, 31
	v_dual_mov_b32 v33, v2 :: v_dual_ashrrev_i32 v26, 31, v29
	s_mov_b32 s61, s60
	v_mov_b32_e32 v39, v2
	s_add_nc_u64 s[62:63], s[44:45], s[60:61]
	s_delay_alu instid0(VALU_DEP_2)
	v_mov_b32_e32 v27, v26
	s_xor_b64 s[62:63], s[62:63], s[60:61]
	v_mov_b32_e32 v43, v2
	s_cvt_f32_u32 s1, s62
	s_cvt_f32_u32 s2, s63
	s_sub_nc_u64 s[70:71], 0, s[62:63]
	v_add_nc_u64_e32 v[30:31], v[28:29], v[26:27]
	s_delay_alu instid0(SALU_CYCLE_1) | instskip(NEXT) | instid1(SALU_CYCLE_3)
	s_fmamk_f32 s1, s2, 0x4f800000, s1
	v_s_rcp_f32 s1, s1
	s_delay_alu instid0(VALU_DEP_1) | instskip(NEXT) | instid1(VALU_DEP_2)
	v_xor_b32_e32 v32, v30, v26
	v_xor_b32_e32 v38, v31, v26
	;; [unrolled: 1-line block ×3, first 2 shown]
	s_delay_alu instid0(TRANS32_DEP_1) | instskip(NEXT) | instid1(SALU_CYCLE_3)
	s_mul_f32 s1, s1, 0x5f7ffffc
	s_mul_f32 s2, s1, 0x2f800000
	s_delay_alu instid0(SALU_CYCLE_3) | instskip(NEXT) | instid1(SALU_CYCLE_3)
	s_trunc_f32 s2, s2
	s_fmamk_f32 s1, s2, 0xcf800000, s1
	s_cvt_u32_f32 s69, s2
	s_delay_alu instid0(SALU_CYCLE_2) | instskip(NEXT) | instid1(SALU_CYCLE_3)
	s_cvt_u32_f32 s68, s1
	s_mul_u64 s[72:73], s[70:71], s[68:69]
	s_delay_alu instid0(SALU_CYCLE_1)
	s_mul_hi_u32 s75, s68, s73
	s_mul_i32 s74, s68, s73
	s_mul_hi_u32 s2, s68, s72
	s_mul_i32 s61, s69, s72
	s_add_nc_u64 s[74:75], s[2:3], s[74:75]
	s_mul_hi_u32 s1, s69, s72
	s_mul_hi_u32 s67, s69, s73
	s_add_co_u32 s2, s74, s61
	s_add_co_ci_u32 s2, s75, s1
	s_mul_i32 s72, s69, s73
	s_add_co_ci_u32 s73, s67, 0
	s_delay_alu instid0(SALU_CYCLE_1) | instskip(NEXT) | instid1(SALU_CYCLE_1)
	s_add_nc_u64 s[72:73], s[2:3], s[72:73]
	s_add_co_u32 s68, s68, s72
	s_cselect_b32 s1, -1, 0
	s_delay_alu instid0(SALU_CYCLE_1) | instskip(SKIP_1) | instid1(SALU_CYCLE_1)
	s_cmp_lg_u32 s1, 0
	s_add_co_ci_u32 s69, s69, s73
	s_mul_u64 s[70:71], s[70:71], s[68:69]
	s_delay_alu instid0(SALU_CYCLE_1)
	s_mul_hi_u32 s73, s68, s71
	s_mul_i32 s72, s68, s71
	s_mul_hi_u32 s2, s68, s70
	s_mul_i32 s61, s69, s70
	s_add_nc_u64 s[72:73], s[2:3], s[72:73]
	s_mul_hi_u32 s1, s69, s70
	s_mul_hi_u32 s67, s69, s71
	s_add_co_u32 s2, s72, s61
	s_add_co_ci_u32 s2, s73, s1
	s_mul_i32 s70, s69, s71
	s_add_co_ci_u32 s71, s67, 0
	s_delay_alu instid0(SALU_CYCLE_1) | instskip(NEXT) | instid1(SALU_CYCLE_1)
	s_add_nc_u64 s[70:71], s[2:3], s[70:71]
	s_add_co_u32 s68, s68, s70
	s_cselect_b32 s1, -1, 0
	v_mul_hi_u32 v42, v32, s68
	s_cmp_lg_u32 s1, 0
	s_add_co_ci_u32 s2, s69, s71
	s_and_b64 s[70:71], s[68:69], s[28:29]
	v_mul_u64_e32 v[34:35], s[2:3], v[32:33]
	v_mul_u64_e32 v[30:31], s[70:71], v[38:39]
	;; [unrolled: 1-line block ×3, first 2 shown]
	s_delay_alu instid0(VALU_DEP_3) | instskip(NEXT) | instid1(VALU_DEP_1)
	v_add_nc_u64_e32 v[34:35], v[42:43], v[34:35]
	v_add_co_u32 v3, vcc_lo, v34, v30
	s_delay_alu instid0(VALU_DEP_2) | instskip(NEXT) | instid1(VALU_DEP_4)
	v_add_co_ci_u32_e32 v42, vcc_lo, v35, v31, vcc_lo
	v_add_co_ci_u32_e32 v41, vcc_lo, 0, v41, vcc_lo
	s_delay_alu instid0(VALU_DEP_1) | instskip(NEXT) | instid1(VALU_DEP_1)
	v_add_nc_u64_e32 v[30:31], v[42:43], v[40:41]
	v_mul_u64_e32 v[34:35], s[62:63], v[30:31]
	s_delay_alu instid0(VALU_DEP_1) | instskip(NEXT) | instid1(VALU_DEP_2)
	v_sub_nc_u32_e32 v3, v38, v35
	v_sub_co_u32 v27, vcc_lo, v32, v34
	s_delay_alu instid0(VALU_DEP_1) | instskip(NEXT) | instid1(VALU_DEP_3)
	v_sub_co_ci_u32_e64 v37, null, v38, v35, vcc_lo
	v_subrev_co_ci_u32_e64 v3, null, s63, v3, vcc_lo
	s_delay_alu instid0(VALU_DEP_3) | instskip(SKIP_1) | instid1(VALU_DEP_3)
	v_sub_co_u32 v32, s1, v27, s62
	v_add_nc_u64_e32 v[34:35], 1, v[30:31]
	v_subrev_co_ci_u32_e64 v3, null, 0, v3, s1
	s_delay_alu instid0(VALU_DEP_3) | instskip(SKIP_1) | instid1(VALU_DEP_3)
	v_cmp_le_u32_e32 vcc_lo, s62, v32
	v_cndmask_b32_e64 v32, 0, -1, vcc_lo
	v_cmp_le_u32_e32 vcc_lo, s63, v3
	v_cndmask_b32_e64 v33, 0, -1, vcc_lo
	v_cmp_le_u32_e32 vcc_lo, s62, v27
	v_cndmask_b32_e64 v27, 0, -1, vcc_lo
	v_cmp_le_u32_e32 vcc_lo, s63, v37
	v_cndmask_b32_e64 v38, 0, -1, vcc_lo
	v_cmp_eq_u32_e32 vcc_lo, s63, v3
	v_cndmask_b32_e32 v3, v33, v32, vcc_lo
	v_cmp_eq_u32_e32 vcc_lo, s63, v37
	v_add_nc_u64_e32 v[32:33], 2, v[30:31]
	v_cndmask_b32_e32 v27, v38, v27, vcc_lo
	s_delay_alu instid0(VALU_DEP_4) | instskip(NEXT) | instid1(VALU_DEP_2)
	v_cmp_ne_u32_e32 vcc_lo, 0, v3
	v_cmp_ne_u32_e64 s1, 0, v27
	s_delay_alu instid0(VALU_DEP_4) | instskip(NEXT) | instid1(VALU_DEP_1)
	v_dual_cndmask_b32 v3, v35, v33, vcc_lo :: v_dual_cndmask_b32 v27, v34, v32, vcc_lo
	v_cndmask_b32_e64 v3, v31, v3, s1
	s_delay_alu instid0(VALU_DEP_2) | instskip(NEXT) | instid1(VALU_DEP_2)
	v_cndmask_b32_e64 v30, v30, v27, s1
	v_dual_mov_b32 v27, v26 :: v_dual_bitop2_b32 v31, v3, v26 bitop3:0x14
	s_delay_alu instid0(VALU_DEP_2) | instskip(NEXT) | instid1(VALU_DEP_1)
	v_xor_b32_e32 v30, v30, v26
	v_sub_nc_u64_e32 v[26:27], v[30:31], v[26:27]
.LBB0_47:                               ;   in Loop: Header=BB0_44 Depth=2
	s_and_not1_saveexec_b32 s1, s66
	s_cbranch_execz .LBB0_49
; %bb.48:                               ;   in Loop: Header=BB0_44 Depth=2
	v_cvt_f32_u32_e32 v3, s44
	s_sub_co_i32 s2, 0, s44
	s_delay_alu instid0(VALU_DEP_1) | instskip(SKIP_1) | instid1(TRANS32_DEP_1)
	v_rcp_iflag_f32_e32 v3, v3
	v_nop
	v_mul_f32_e32 v3, 0x4f7ffffe, v3
	s_delay_alu instid0(VALU_DEP_1) | instskip(NEXT) | instid1(VALU_DEP_1)
	v_cvt_u32_f32_e32 v3, v3
	v_mul_lo_u32 v26, s2, v3
	s_delay_alu instid0(VALU_DEP_1) | instskip(NEXT) | instid1(VALU_DEP_1)
	v_mul_hi_u32 v26, v3, v26
	v_add_nc_u32_e32 v3, v3, v26
	s_delay_alu instid0(VALU_DEP_1) | instskip(NEXT) | instid1(VALU_DEP_1)
	v_mul_hi_u32 v3, v28, v3
	v_mul_lo_u32 v26, v3, s44
	s_delay_alu instid0(VALU_DEP_1) | instskip(NEXT) | instid1(VALU_DEP_1)
	v_sub_nc_u32_e32 v26, v28, v26
	v_subrev_nc_u32_e32 v30, s44, v26
	v_cmp_le_u32_e32 vcc_lo, s44, v26
	s_delay_alu instid0(VALU_DEP_2) | instskip(NEXT) | instid1(VALU_DEP_1)
	v_dual_cndmask_b32 v26, v26, v30 :: v_dual_add_nc_u32 v27, 1, v3
	v_cndmask_b32_e32 v3, v3, v27, vcc_lo
	s_delay_alu instid0(VALU_DEP_2) | instskip(NEXT) | instid1(VALU_DEP_2)
	v_cmp_le_u32_e32 vcc_lo, s44, v26
	v_add_nc_u32_e32 v27, 1, v3
	s_delay_alu instid0(VALU_DEP_1)
	v_dual_cndmask_b32 v26, v3, v27 :: v_dual_mov_b32 v27, v2
.LBB0_49:                               ;   in Loop: Header=BB0_44 Depth=2
	s_or_b32 exec_lo, exec_lo, s1
	s_delay_alu instid0(VALU_DEP_1) | instskip(SKIP_3) | instid1(VALU_DEP_2)
	v_mul_u64_e32 v[30:31], s[44:45], v[26:27]
	v_add_nc_u64_e32 v[26:27], v[26:27], v[14:15]
	v_mov_b64_e32 v[32:33], v[10:11]
	s_mov_b32 s66, 0
	v_mul_u64_e32 v[26:27], s[18:19], v[26:27]
	s_delay_alu instid0(VALU_DEP_4) | instskip(SKIP_1) | instid1(VALU_DEP_2)
	v_sub_nc_u64_e32 v[28:29], v[28:29], v[30:31]
	v_mov_b64_e32 v[30:31], v[16:17]
	v_cmp_eq_u64_e64 s1, 0, v[28:29]
	v_mov_b64_e32 v[28:29], v[8:9]
	s_branch .LBB0_52
.LBB0_50:                               ;   in Loop: Header=BB0_52 Depth=3
	s_wait_xcnt 0x0
	s_or_b32 exec_lo, exec_lo, s2
.LBB0_51:                               ;   in Loop: Header=BB0_52 Depth=3
	s_delay_alu instid0(SALU_CYCLE_1) | instskip(SKIP_3) | instid1(VALU_DEP_3)
	s_or_b32 exec_lo, exec_lo, s67
	v_add_nc_u64_e32 v[32:33], 1, v[32:33]
	v_add_nc_u64_e32 v[30:31], 8, v[30:31]
	v_sub_nc_u64_e64 v[28:29], v[28:29], s[42:43]
	v_cmp_ge_i64_e32 vcc_lo, v[32:33], v[24:25]
	s_or_b32 s66, vcc_lo, s66
	s_delay_alu instid0(SALU_CYCLE_1)
	s_and_not1_b32 exec_lo, exec_lo, s66
	s_cbranch_execz .LBB0_42
.LBB0_52:                               ;   Parent Loop BB0_4 Depth=1
                                        ;     Parent Loop BB0_44 Depth=2
                                        ; =>    This Inner Loop Header: Depth=3
	s_delay_alu instid0(VALU_DEP_2)
	s_and_saveexec_b32 s67, s1
	s_cbranch_execz .LBB0_51
; %bb.53:                               ;   in Loop: Header=BB0_52 Depth=3
	s_delay_alu instid0(VALU_DEP_1) | instskip(SKIP_1) | instid1(VALU_DEP_1)
	v_or_b32_e32 v3, s47, v29
                                        ; implicit-def: $vgpr34_vgpr35
	s_mov_b32 s2, exec_lo
	v_cmpx_ne_u64_e32 0, v[2:3]
	s_xor_b32 s68, exec_lo, s2
	s_cbranch_execz .LBB0_55
; %bb.54:                               ;   in Loop: Header=BB0_52 Depth=3
	s_ashr_i32 s60, s47, 31
	v_dual_mov_b32 v41, v2 :: v_dual_ashrrev_i32 v34, 31, v29
	s_mov_b32 s61, s60
	v_mov_b32_e32 v45, v2
	s_add_nc_u64 s[62:63], s[46:47], s[60:61]
	s_delay_alu instid0(VALU_DEP_2)
	v_mov_b32_e32 v35, v34
	s_xor_b64 s[62:63], s[62:63], s[60:61]
	v_mov_b32_e32 v49, v2
	s_cvt_f32_u32 s2, s62
	s_cvt_f32_u32 s61, s63
	s_sub_nc_u64 s[72:73], 0, s[62:63]
	v_add_nc_u64_e32 v[38:39], v[28:29], v[34:35]
	s_delay_alu instid0(SALU_CYCLE_1) | instskip(NEXT) | instid1(SALU_CYCLE_3)
	s_fmamk_f32 s2, s61, 0x4f800000, s2
	v_s_rcp_f32 s2, s2
	s_delay_alu instid0(VALU_DEP_1) | instskip(NEXT) | instid1(VALU_DEP_2)
	v_xor_b32_e32 v44, v39, v34
	v_xor_b32_e32 v40, v38, v34
	s_delay_alu instid0(TRANS32_DEP_1) | instskip(NEXT) | instid1(SALU_CYCLE_3)
	s_mul_f32 s2, s2, 0x5f7ffffc
	s_mul_f32 s61, s2, 0x2f800000
	s_delay_alu instid0(SALU_CYCLE_3) | instskip(NEXT) | instid1(SALU_CYCLE_3)
	s_trunc_f32 s61, s61
	s_fmamk_f32 s2, s61, 0xcf800000, s2
	s_cvt_u32_f32 s71, s61
	s_delay_alu instid0(SALU_CYCLE_2) | instskip(NEXT) | instid1(SALU_CYCLE_3)
	s_cvt_u32_f32 s70, s2
	s_mul_u64 s[74:75], s[72:73], s[70:71]
	s_delay_alu instid0(SALU_CYCLE_1)
	s_mul_hi_u32 s77, s70, s75
	s_mul_i32 s76, s70, s75
	s_mul_hi_u32 s2, s70, s74
	s_mul_i32 s69, s71, s74
	s_add_nc_u64 s[76:77], s[2:3], s[76:77]
	s_mul_hi_u32 s61, s71, s74
	s_mul_hi_u32 s78, s71, s75
	s_add_co_u32 s2, s76, s69
	s_add_co_ci_u32 s2, s77, s61
	s_mul_i32 s74, s71, s75
	s_add_co_ci_u32 s75, s78, 0
	s_delay_alu instid0(SALU_CYCLE_1) | instskip(NEXT) | instid1(SALU_CYCLE_1)
	s_add_nc_u64 s[74:75], s[2:3], s[74:75]
	s_add_co_u32 s70, s70, s74
	s_cselect_b32 s2, -1, 0
	s_delay_alu instid0(SALU_CYCLE_1) | instskip(SKIP_1) | instid1(SALU_CYCLE_1)
	s_cmp_lg_u32 s2, 0
	s_add_co_ci_u32 s71, s71, s75
	s_mul_u64 s[72:73], s[72:73], s[70:71]
	s_delay_alu instid0(SALU_CYCLE_1)
	s_mul_hi_u32 s75, s70, s73
	s_mul_i32 s74, s70, s73
	s_mul_hi_u32 s2, s70, s72
	s_mul_i32 s69, s71, s72
	s_add_nc_u64 s[74:75], s[2:3], s[74:75]
	s_mul_hi_u32 s61, s71, s72
	s_mul_hi_u32 s76, s71, s73
	s_add_co_u32 s2, s74, s69
	s_add_co_ci_u32 s2, s75, s61
	s_mul_i32 s72, s71, s73
	s_add_co_ci_u32 s73, s76, 0
	s_delay_alu instid0(SALU_CYCLE_1) | instskip(NEXT) | instid1(SALU_CYCLE_1)
	s_add_nc_u64 s[72:73], s[2:3], s[72:73]
	s_add_co_u32 s70, s70, s72
	s_cselect_b32 s2, -1, 0
	v_mul_hi_u32 v48, v40, s70
	s_cmp_lg_u32 s2, 0
	s_add_co_ci_u32 s2, s71, s73
	s_and_b64 s[72:73], s[70:71], s[28:29]
	v_mul_u64_e32 v[42:43], s[2:3], v[40:41]
	v_mul_u64_e32 v[38:39], s[72:73], v[44:45]
	v_mul_u64_e32 v[46:47], s[2:3], v[44:45]
	s_delay_alu instid0(VALU_DEP_3) | instskip(NEXT) | instid1(VALU_DEP_1)
	v_add_nc_u64_e32 v[42:43], v[48:49], v[42:43]
	v_add_co_u32 v3, vcc_lo, v42, v38
	s_delay_alu instid0(VALU_DEP_2) | instskip(NEXT) | instid1(VALU_DEP_4)
	v_add_co_ci_u32_e32 v48, vcc_lo, v43, v39, vcc_lo
	v_add_co_ci_u32_e32 v47, vcc_lo, 0, v47, vcc_lo
	s_delay_alu instid0(VALU_DEP_1) | instskip(NEXT) | instid1(VALU_DEP_1)
	v_add_nc_u64_e32 v[38:39], v[48:49], v[46:47]
	v_mul_u64_e32 v[42:43], s[62:63], v[38:39]
	s_delay_alu instid0(VALU_DEP_1) | instskip(NEXT) | instid1(VALU_DEP_2)
	v_sub_nc_u32_e32 v3, v44, v43
	v_sub_co_u32 v35, vcc_lo, v40, v42
	s_delay_alu instid0(VALU_DEP_1) | instskip(NEXT) | instid1(VALU_DEP_3)
	v_sub_co_ci_u32_e64 v44, null, v44, v43, vcc_lo
	v_subrev_co_ci_u32_e64 v3, null, s63, v3, vcc_lo
	s_delay_alu instid0(VALU_DEP_3) | instskip(SKIP_1) | instid1(VALU_DEP_3)
	v_sub_co_u32 v37, s2, v35, s62
	v_add_nc_u64_e32 v[42:43], 1, v[38:39]
	v_subrev_co_ci_u32_e64 v3, null, 0, v3, s2
	s_delay_alu instid0(VALU_DEP_3) | instskip(SKIP_1) | instid1(VALU_DEP_3)
	v_cmp_le_u32_e32 vcc_lo, s62, v37
	v_cndmask_b32_e64 v37, 0, -1, vcc_lo
	v_cmp_le_u32_e32 vcc_lo, s63, v3
	v_cndmask_b32_e64 v40, 0, -1, vcc_lo
	;; [unrolled: 2-line block ×4, first 2 shown]
	v_cmp_eq_u32_e32 vcc_lo, s63, v3
	v_cndmask_b32_e32 v3, v40, v37, vcc_lo
	v_cmp_eq_u32_e32 vcc_lo, s63, v44
	v_add_nc_u64_e32 v[40:41], 2, v[38:39]
	v_cndmask_b32_e32 v35, v45, v35, vcc_lo
	s_delay_alu instid0(VALU_DEP_4) | instskip(NEXT) | instid1(VALU_DEP_2)
	v_cmp_ne_u32_e32 vcc_lo, 0, v3
	v_cmp_ne_u32_e64 s2, 0, v35
	s_delay_alu instid0(VALU_DEP_4) | instskip(NEXT) | instid1(VALU_DEP_1)
	v_dual_cndmask_b32 v3, v43, v41, vcc_lo :: v_dual_cndmask_b32 v35, v42, v40, vcc_lo
	v_dual_cndmask_b32 v3, v39, v3, s2 :: v_dual_bitop2_b32 v34, s60, v34 bitop3:0x14
	s_delay_alu instid0(VALU_DEP_1) | instskip(NEXT) | instid1(VALU_DEP_1)
	v_dual_cndmask_b32 v37, v38, v35, s2 :: v_dual_bitop2_b32 v39, v3, v34 bitop3:0x14
	v_dual_mov_b32 v35, v34 :: v_dual_bitop2_b32 v38, v37, v34 bitop3:0x14
	s_delay_alu instid0(VALU_DEP_1)
	v_sub_nc_u64_e32 v[34:35], v[38:39], v[34:35]
.LBB0_55:                               ;   in Loop: Header=BB0_52 Depth=3
	s_and_not1_saveexec_b32 s2, s68
	s_cbranch_execz .LBB0_57
; %bb.56:                               ;   in Loop: Header=BB0_52 Depth=3
	v_cvt_f32_u32_e32 v3, s46
	s_sub_co_i32 s60, 0, s46
	s_delay_alu instid0(VALU_DEP_1) | instskip(SKIP_1) | instid1(TRANS32_DEP_1)
	v_rcp_iflag_f32_e32 v3, v3
	v_nop
	v_mul_f32_e32 v3, 0x4f7ffffe, v3
	s_delay_alu instid0(VALU_DEP_1) | instskip(NEXT) | instid1(VALU_DEP_1)
	v_cvt_u32_f32_e32 v3, v3
	v_mul_lo_u32 v34, s60, v3
	s_delay_alu instid0(VALU_DEP_1) | instskip(NEXT) | instid1(VALU_DEP_1)
	v_mul_hi_u32 v34, v3, v34
	v_add_nc_u32_e32 v3, v3, v34
	s_delay_alu instid0(VALU_DEP_1) | instskip(NEXT) | instid1(VALU_DEP_1)
	v_mul_hi_u32 v3, v28, v3
	v_mul_lo_u32 v34, v3, s46
	s_delay_alu instid0(VALU_DEP_1) | instskip(NEXT) | instid1(VALU_DEP_1)
	v_dual_add_nc_u32 v35, 1, v3 :: v_dual_sub_nc_u32 v34, v28, v34
	v_subrev_nc_u32_e32 v37, s46, v34
	v_cmp_le_u32_e32 vcc_lo, s46, v34
	s_delay_alu instid0(VALU_DEP_2) | instskip(NEXT) | instid1(VALU_DEP_1)
	v_dual_cndmask_b32 v34, v34, v37 :: v_dual_cndmask_b32 v3, v3, v35
	v_cmp_le_u32_e32 vcc_lo, s46, v34
	s_delay_alu instid0(VALU_DEP_2) | instskip(NEXT) | instid1(VALU_DEP_1)
	v_add_nc_u32_e32 v35, 1, v3
	v_dual_cndmask_b32 v34, v3, v35 :: v_dual_mov_b32 v35, v2
.LBB0_57:                               ;   in Loop: Header=BB0_52 Depth=3
	s_or_b32 exec_lo, exec_lo, s2
	s_delay_alu instid0(VALU_DEP_1) | instskip(SKIP_1) | instid1(VALU_DEP_1)
	v_mul_u64_e32 v[38:39], s[46:47], v[34:35]
	s_mov_b32 s2, exec_lo
	v_sub_nc_u64_e32 v[38:39], v[28:29], v[38:39]
	s_delay_alu instid0(VALU_DEP_1)
	v_cmpx_eq_u64_e32 0, v[38:39]
	s_cbranch_execz .LBB0_50
; %bb.58:                               ;   in Loop: Header=BB0_52 Depth=3
	v_add_nc_u64_e32 v[34:35], v[26:27], v[34:35]
	s_delay_alu instid0(VALU_DEP_1) | instskip(NEXT) | instid1(VALU_DEP_1)
	v_mad_nc_u64_u32 v[38:39], v34, s48, v[18:19]
	v_mad_u32 v3, v35, s48, v39
	s_delay_alu instid0(VALU_DEP_2) | instskip(NEXT) | instid1(VALU_DEP_2)
	v_mad_nc_u64_u32 v[40:41], s54, v38, v[30:31]
	v_mad_u32 v3, v34, s49, v3
	s_delay_alu instid0(VALU_DEP_2) | instskip(NEXT) | instid1(VALU_DEP_1)
	v_mad_u32 v34, s55, v38, v41
	v_mad_u32 v41, s54, v3, v34
	global_load_b64 v[34:35], v[40:41], off
	s_wait_loadcnt 0x0
	v_add_f64_e32 v[22:23], v[22:23], v[34:35]
	s_branch .LBB0_50
.LBB0_59:
	s_endpgm
	.section	.rodata,"a",@progbits
	.p2align	6, 0x0
	.amdhsa_kernel _ZN2at6native21col2im_batched_kernelIdEEvlPKT_llllllllllllllPS2_l
		.amdhsa_group_segment_fixed_size 0
		.amdhsa_private_segment_fixed_size 0
		.amdhsa_kernarg_size 400
		.amdhsa_user_sgpr_count 2
		.amdhsa_user_sgpr_dispatch_ptr 0
		.amdhsa_user_sgpr_queue_ptr 0
		.amdhsa_user_sgpr_kernarg_segment_ptr 1
		.amdhsa_user_sgpr_dispatch_id 0
		.amdhsa_user_sgpr_kernarg_preload_length 0
		.amdhsa_user_sgpr_kernarg_preload_offset 0
		.amdhsa_user_sgpr_private_segment_size 0
		.amdhsa_wavefront_size32 1
		.amdhsa_uses_dynamic_stack 0
		.amdhsa_enable_private_segment 0
		.amdhsa_system_sgpr_workgroup_id_x 1
		.amdhsa_system_sgpr_workgroup_id_y 0
		.amdhsa_system_sgpr_workgroup_id_z 0
		.amdhsa_system_sgpr_workgroup_info 0
		.amdhsa_system_vgpr_workitem_id 0
		.amdhsa_next_free_vgpr 50
		.amdhsa_next_free_sgpr 79
		.amdhsa_named_barrier_count 0
		.amdhsa_reserve_vcc 1
		.amdhsa_float_round_mode_32 0
		.amdhsa_float_round_mode_16_64 0
		.amdhsa_float_denorm_mode_32 3
		.amdhsa_float_denorm_mode_16_64 3
		.amdhsa_fp16_overflow 0
		.amdhsa_memory_ordered 1
		.amdhsa_forward_progress 1
		.amdhsa_inst_pref_size 65
		.amdhsa_round_robin_scheduling 0
		.amdhsa_exception_fp_ieee_invalid_op 0
		.amdhsa_exception_fp_denorm_src 0
		.amdhsa_exception_fp_ieee_div_zero 0
		.amdhsa_exception_fp_ieee_overflow 0
		.amdhsa_exception_fp_ieee_underflow 0
		.amdhsa_exception_fp_ieee_inexact 0
		.amdhsa_exception_int_div_zero 0
	.end_amdhsa_kernel
	.section	.text._ZN2at6native21col2im_batched_kernelIdEEvlPKT_llllllllllllllPS2_l,"axG",@progbits,_ZN2at6native21col2im_batched_kernelIdEEvlPKT_llllllllllllllPS2_l,comdat
.Lfunc_end0:
	.size	_ZN2at6native21col2im_batched_kernelIdEEvlPKT_llllllllllllllPS2_l, .Lfunc_end0-_ZN2at6native21col2im_batched_kernelIdEEvlPKT_llllllllllllllPS2_l
                                        ; -- End function
	.set _ZN2at6native21col2im_batched_kernelIdEEvlPKT_llllllllllllllPS2_l.num_vgpr, 50
	.set _ZN2at6native21col2im_batched_kernelIdEEvlPKT_llllllllllllllPS2_l.num_agpr, 0
	.set _ZN2at6native21col2im_batched_kernelIdEEvlPKT_llllllllllllllPS2_l.numbered_sgpr, 79
	.set _ZN2at6native21col2im_batched_kernelIdEEvlPKT_llllllllllllllPS2_l.num_named_barrier, 0
	.set _ZN2at6native21col2im_batched_kernelIdEEvlPKT_llllllllllllllPS2_l.private_seg_size, 0
	.set _ZN2at6native21col2im_batched_kernelIdEEvlPKT_llllllllllllllPS2_l.uses_vcc, 1
	.set _ZN2at6native21col2im_batched_kernelIdEEvlPKT_llllllllllllllPS2_l.uses_flat_scratch, 0
	.set _ZN2at6native21col2im_batched_kernelIdEEvlPKT_llllllllllllllPS2_l.has_dyn_sized_stack, 0
	.set _ZN2at6native21col2im_batched_kernelIdEEvlPKT_llllllllllllllPS2_l.has_recursion, 0
	.set _ZN2at6native21col2im_batched_kernelIdEEvlPKT_llllllllllllllPS2_l.has_indirect_call, 0
	.section	.AMDGPU.csdata,"",@progbits
; Kernel info:
; codeLenInByte = 8208
; TotalNumSgprs: 81
; NumVgprs: 50
; ScratchSize: 0
; MemoryBound: 0
; FloatMode: 240
; IeeeMode: 1
; LDSByteSize: 0 bytes/workgroup (compile time only)
; SGPRBlocks: 0
; VGPRBlocks: 3
; NumSGPRsForWavesPerEU: 81
; NumVGPRsForWavesPerEU: 50
; NamedBarCnt: 0
; Occupancy: 16
; WaveLimiterHint : 0
; COMPUTE_PGM_RSRC2:SCRATCH_EN: 0
; COMPUTE_PGM_RSRC2:USER_SGPR: 2
; COMPUTE_PGM_RSRC2:TRAP_HANDLER: 0
; COMPUTE_PGM_RSRC2:TGID_X_EN: 1
; COMPUTE_PGM_RSRC2:TGID_Y_EN: 0
; COMPUTE_PGM_RSRC2:TGID_Z_EN: 0
; COMPUTE_PGM_RSRC2:TIDIG_COMP_CNT: 0
	.section	.text._ZN2at6native21col2im_batched_kernelIfEEvlPKT_llllllllllllllPS2_l,"axG",@progbits,_ZN2at6native21col2im_batched_kernelIfEEvlPKT_llllllllllllllPS2_l,comdat
	.protected	_ZN2at6native21col2im_batched_kernelIfEEvlPKT_llllllllllllllPS2_l ; -- Begin function _ZN2at6native21col2im_batched_kernelIfEEvlPKT_llllllllllllllPS2_l
	.globl	_ZN2at6native21col2im_batched_kernelIfEEvlPKT_llllllllllllllPS2_l
	.p2align	8
	.type	_ZN2at6native21col2im_batched_kernelIfEEvlPKT_llllllllllllllPS2_l,@function
_ZN2at6native21col2im_batched_kernelIfEEvlPKT_llllllllllllllPS2_l: ; @_ZN2at6native21col2im_batched_kernelIfEEvlPKT_llllllllllllllPS2_l
; %bb.0:
	s_load_b32 s2, s[0:1], 0x9c
	s_bfe_u32 s20, ttmp6, 0x4000c
	s_load_b512 s[4:19], s[0:1], 0x0
	v_mov_b32_e32 v2, 0
	s_add_co_i32 s20, s20, 1
	s_and_b32 s3, ttmp6, 15
	s_mul_i32 s20, ttmp9, s20
	s_getreg_b32 s21, hwreg(HW_REG_IB_STS2, 6, 4)
	v_mov_b32_e32 v1, v2
	s_add_co_i32 s3, s3, s20
	s_mov_b32 s20, exec_lo
	s_wait_kmcnt 0x0
	s_and_b32 s2, s2, 0xffff
	s_cmp_eq_u32 s21, 0
	s_mul_u64 s[10:11], s[10:11], s[4:5]
	s_cselect_b32 s3, ttmp9, s3
	s_delay_alu instid0(SALU_CYCLE_1) | instskip(SKIP_1) | instid1(VALU_DEP_1)
	v_mad_nc_u64_u32 v[0:1], s2, s3, v[0:1]
	s_mov_b32 s3, 0
	v_cmpx_gt_i64_e64 s[10:11], v[0:1]
	s_cbranch_execz .LBB1_59
; %bb.1:
	s_load_b512 s[36:51], s[0:1], 0x40
	s_add_nc_u64 s[20:21], s[0:1], 0x90
	v_cvt_f32_u32_e32 v3, s4
	s_load_b32 s26, s[20:21], 0x0
	s_add_nc_u64 s[52:53], s[16:17], -1
	s_wait_xcnt 0x0
	s_load_b128 s[20:23], s[0:1], 0x80
	s_wait_xcnt 0x0
	s_add_nc_u64 s[0:1], s[18:19], -1
	v_rcp_iflag_f32_e32 v3, v3
	s_mul_u64 s[24:25], s[14:15], s[12:13]
	s_mov_b32 s27, s3
	s_lshl_b64 s[8:9], s[8:9], 2
	s_mov_b64 s[28:29], 0xffffffff
	s_ashr_i32 s30, s5, 31
	s_mov_b32 s33, 0
	v_nop
	v_mul_f32_e32 v3, 0x4f7ffffe, v3
	s_delay_alu instid0(VALU_DEP_1)
	v_cvt_u32_f32_e32 v34, v3
	s_wait_kmcnt 0x0
	s_mul_u64 s[34:35], s[46:47], s[0:1]
	s_mul_u64 s[52:53], s[44:45], s[52:53]
	s_lshl_b64 s[54:55], s[50:51], 2
	s_not_b64 s[56:57], s[52:53]
	s_not_b64 s[58:59], s[34:35]
	s_mul_i32 s26, s26, s2
	s_branch .LBB1_4
.LBB1_2:                                ;   in Loop: Header=BB1_4 Depth=1
	s_or_b32 exec_lo, exec_lo, s64
.LBB1_3:                                ;   in Loop: Header=BB1_4 Depth=1
	s_delay_alu instid0(SALU_CYCLE_1) | instskip(SKIP_2) | instid1(VALU_DEP_1)
	s_or_b32 exec_lo, exec_lo, s31
	v_mul_u64_e32 v[4:5], s[22:23], v[4:5]
	v_add_nc_u64_e32 v[0:1], s[26:27], v[0:1]
	v_cmp_le_i64_e32 vcc_lo, s[10:11], v[0:1]
	s_or_b32 s33, vcc_lo, s33
	s_delay_alu instid0(VALU_DEP_3) | instskip(NEXT) | instid1(VALU_DEP_1)
	v_lshl_add_u64 v[4:5], v[4:5], 2, s[20:21]
	v_lshl_add_u64 v[4:5], v[6:7], 2, v[4:5]
	global_store_b32 v[4:5], v35, off
	s_wait_xcnt 0x0
	s_and_not1_b32 exec_lo, exec_lo, s33
	s_cbranch_execz .LBB1_59
.LBB1_4:                                ; =>This Loop Header: Depth=1
                                        ;     Child Loop BB1_44 Depth 2
                                        ;       Child Loop BB1_52 Depth 3
	v_or_b32_e32 v3, s5, v1
                                        ; implicit-def: $vgpr4_vgpr5
	s_mov_b32 s0, exec_lo
	s_delay_alu instid0(VALU_DEP_1)
	v_cmpx_ne_u64_e32 0, v[2:3]
	s_xor_b32 s1, exec_lo, s0
	s_cbranch_execz .LBB1_6
; %bb.5:                                ;   in Loop: Header=BB1_4 Depth=1
	s_mov_b32 s31, s30
	v_dual_mov_b32 v9, v2 :: v_dual_ashrrev_i32 v4, 31, v1
	s_add_nc_u64 s[60:61], s[4:5], s[30:31]
	s_delay_alu instid0(SALU_CYCLE_1) | instskip(NEXT) | instid1(VALU_DEP_1)
	s_xor_b64 s[60:61], s[60:61], s[30:31]
	v_mov_b32_e32 v5, v4
	s_cvt_f32_u32 s0, s60
	s_cvt_f32_u32 s2, s61
	s_sub_nc_u64 s[64:65], 0, s[60:61]
	s_delay_alu instid0(VALU_DEP_1) | instskip(NEXT) | instid1(SALU_CYCLE_1)
	v_add_nc_u64_e32 v[6:7], v[0:1], v[4:5]
	s_fmamk_f32 s0, s2, 0x4f800000, s0
	v_mov_b32_e32 v13, v2
	s_delay_alu instid0(SALU_CYCLE_2) | instskip(NEXT) | instid1(VALU_DEP_2)
	v_s_rcp_f32 s0, s0
	v_xor_b32_e32 v8, v6, v4
	s_delay_alu instid0(VALU_DEP_3) | instskip(SKIP_1) | instid1(TRANS32_DEP_1)
	v_dual_mov_b32 v17, v2 :: v_dual_bitop2_b32 v12, v7, v4 bitop3:0x14
	v_xor_b32_e32 v4, s30, v4
	s_mul_f32 s0, s0, 0x5f7ffffc
	s_delay_alu instid0(SALU_CYCLE_3) | instskip(NEXT) | instid1(SALU_CYCLE_3)
	s_mul_f32 s2, s0, 0x2f800000
	s_trunc_f32 s2, s2
	s_delay_alu instid0(SALU_CYCLE_3) | instskip(SKIP_1) | instid1(SALU_CYCLE_2)
	s_fmamk_f32 s0, s2, 0xcf800000, s0
	s_cvt_u32_f32 s63, s2
	s_cvt_u32_f32 s62, s0
	s_delay_alu instid0(SALU_CYCLE_3) | instskip(NEXT) | instid1(SALU_CYCLE_1)
	s_mul_u64 s[66:67], s[64:65], s[62:63]
	s_mul_hi_u32 s69, s62, s67
	s_mul_i32 s68, s62, s67
	s_mul_hi_u32 s2, s62, s66
	s_mul_i32 s31, s63, s66
	s_add_nc_u64 s[68:69], s[2:3], s[68:69]
	s_mul_hi_u32 s0, s63, s66
	s_mul_hi_u32 s70, s63, s67
	s_add_co_u32 s2, s68, s31
	s_add_co_ci_u32 s2, s69, s0
	s_mul_i32 s66, s63, s67
	s_add_co_ci_u32 s67, s70, 0
	s_delay_alu instid0(SALU_CYCLE_1) | instskip(NEXT) | instid1(SALU_CYCLE_1)
	s_add_nc_u64 s[66:67], s[2:3], s[66:67]
	s_add_co_u32 s62, s62, s66
	s_cselect_b32 s0, -1, 0
	s_delay_alu instid0(SALU_CYCLE_1) | instskip(SKIP_1) | instid1(SALU_CYCLE_1)
	s_cmp_lg_u32 s0, 0
	s_add_co_ci_u32 s63, s63, s67
	s_mul_u64 s[64:65], s[64:65], s[62:63]
	s_delay_alu instid0(SALU_CYCLE_1)
	s_mul_hi_u32 s67, s62, s65
	s_mul_i32 s66, s62, s65
	s_mul_hi_u32 s2, s62, s64
	s_mul_i32 s31, s63, s64
	s_add_nc_u64 s[66:67], s[2:3], s[66:67]
	s_mul_hi_u32 s0, s63, s64
	s_mul_hi_u32 s68, s63, s65
	s_add_co_u32 s2, s66, s31
	s_add_co_ci_u32 s2, s67, s0
	s_mul_i32 s64, s63, s65
	s_add_co_ci_u32 s65, s68, 0
	s_delay_alu instid0(SALU_CYCLE_1) | instskip(NEXT) | instid1(SALU_CYCLE_1)
	s_add_nc_u64 s[64:65], s[2:3], s[64:65]
	s_add_co_u32 s0, s62, s64
	s_cselect_b32 s2, -1, 0
	v_mul_hi_u32 v16, v8, s0
	s_cmp_lg_u32 s2, 0
	s_add_co_ci_u32 s2, s63, s65
	s_and_b64 s[62:63], s[0:1], s[28:29]
	v_mul_u64_e32 v[10:11], s[2:3], v[8:9]
	v_mul_u64_e32 v[6:7], s[62:63], v[12:13]
	;; [unrolled: 1-line block ×3, first 2 shown]
	s_delay_alu instid0(VALU_DEP_3) | instskip(NEXT) | instid1(VALU_DEP_1)
	v_add_nc_u64_e32 v[10:11], v[16:17], v[10:11]
	v_add_co_u32 v3, vcc_lo, v10, v6
	s_delay_alu instid0(VALU_DEP_2) | instskip(NEXT) | instid1(VALU_DEP_4)
	v_add_co_ci_u32_e32 v16, vcc_lo, v11, v7, vcc_lo
	v_add_co_ci_u32_e32 v15, vcc_lo, 0, v15, vcc_lo
	s_delay_alu instid0(VALU_DEP_1) | instskip(NEXT) | instid1(VALU_DEP_1)
	v_add_nc_u64_e32 v[6:7], v[16:17], v[14:15]
	v_mul_u64_e32 v[10:11], s[60:61], v[6:7]
	s_delay_alu instid0(VALU_DEP_1) | instskip(NEXT) | instid1(VALU_DEP_2)
	v_sub_nc_u32_e32 v3, v12, v11
	v_sub_co_u32 v5, vcc_lo, v8, v10
	s_delay_alu instid0(VALU_DEP_1) | instskip(NEXT) | instid1(VALU_DEP_3)
	v_sub_co_ci_u32_e64 v12, null, v12, v11, vcc_lo
	v_subrev_co_ci_u32_e64 v3, null, s61, v3, vcc_lo
	s_delay_alu instid0(VALU_DEP_3) | instskip(SKIP_1) | instid1(VALU_DEP_3)
	v_sub_co_u32 v8, s0, v5, s60
	v_add_nc_u64_e32 v[10:11], 1, v[6:7]
	v_subrev_co_ci_u32_e64 v3, null, 0, v3, s0
	s_delay_alu instid0(VALU_DEP_3) | instskip(SKIP_1) | instid1(VALU_DEP_3)
	v_cmp_le_u32_e32 vcc_lo, s60, v8
	v_cndmask_b32_e64 v8, 0, -1, vcc_lo
	v_cmp_le_u32_e32 vcc_lo, s61, v3
	v_cndmask_b32_e64 v9, 0, -1, vcc_lo
	;; [unrolled: 2-line block ×4, first 2 shown]
	v_cmp_eq_u32_e32 vcc_lo, s61, v3
	v_cndmask_b32_e32 v3, v9, v8, vcc_lo
	v_cmp_eq_u32_e32 vcc_lo, s61, v12
	v_add_nc_u64_e32 v[8:9], 2, v[6:7]
	v_cndmask_b32_e32 v5, v13, v5, vcc_lo
	s_delay_alu instid0(VALU_DEP_4) | instskip(NEXT) | instid1(VALU_DEP_2)
	v_cmp_ne_u32_e32 vcc_lo, 0, v3
	v_cmp_ne_u32_e64 s0, 0, v5
	s_delay_alu instid0(VALU_DEP_4) | instskip(NEXT) | instid1(VALU_DEP_1)
	v_dual_cndmask_b32 v3, v11, v9, vcc_lo :: v_dual_cndmask_b32 v5, v10, v8, vcc_lo
	v_dual_cndmask_b32 v6, v6, v5, s0 :: v_dual_mov_b32 v5, v4
	s_delay_alu instid0(VALU_DEP_1) | instskip(NEXT) | instid1(VALU_DEP_1)
	v_dual_cndmask_b32 v3, v7, v3, s0 :: v_dual_bitop2_b32 v6, v6, v4 bitop3:0x14
	v_xor_b32_e32 v7, v3, v4
	s_delay_alu instid0(VALU_DEP_1)
	v_sub_nc_u64_e32 v[4:5], v[6:7], v[4:5]
.LBB1_6:                                ;   in Loop: Header=BB1_4 Depth=1
	s_and_not1_saveexec_b32 s0, s1
	s_cbranch_execz .LBB1_8
; %bb.7:                                ;   in Loop: Header=BB1_4 Depth=1
	s_sub_co_i32 s1, 0, s4
	s_delay_alu instid0(SALU_CYCLE_1) | instskip(NEXT) | instid1(VALU_DEP_1)
	v_mul_lo_u32 v3, s1, v34
	v_mul_hi_u32 v3, v34, v3
	s_delay_alu instid0(VALU_DEP_1) | instskip(NEXT) | instid1(VALU_DEP_1)
	v_add_nc_u32_e32 v3, v34, v3
	v_mul_hi_u32 v3, v0, v3
	s_delay_alu instid0(VALU_DEP_1) | instskip(NEXT) | instid1(VALU_DEP_1)
	v_mul_lo_u32 v4, v3, s4
	v_sub_nc_u32_e32 v4, v0, v4
	s_delay_alu instid0(VALU_DEP_1) | instskip(SKIP_1) | instid1(VALU_DEP_2)
	v_subrev_nc_u32_e32 v6, s4, v4
	v_cmp_le_u32_e32 vcc_lo, s4, v4
	v_dual_cndmask_b32 v4, v4, v6 :: v_dual_add_nc_u32 v5, 1, v3
	s_delay_alu instid0(VALU_DEP_1) | instskip(NEXT) | instid1(VALU_DEP_2)
	v_cndmask_b32_e32 v3, v3, v5, vcc_lo
	v_cmp_le_u32_e32 vcc_lo, s4, v4
	s_delay_alu instid0(VALU_DEP_2) | instskip(NEXT) | instid1(VALU_DEP_1)
	v_add_nc_u32_e32 v5, 1, v3
	v_dual_cndmask_b32 v4, v3, v5 :: v_dual_mov_b32 v5, v2
.LBB1_8:                                ;   in Loop: Header=BB1_4 Depth=1
	s_or_b32 exec_lo, exec_lo, s0
	s_delay_alu instid0(VALU_DEP_1) | instskip(SKIP_1) | instid1(VALU_DEP_1)
	v_mul_u64_e32 v[8:9], s[4:5], v[4:5]
                                        ; implicit-def: $vgpr16_vgpr17
	s_mov_b32 s0, exec_lo
	v_sub_nc_u64_e32 v[6:7], v[0:1], v[8:9]
	s_delay_alu instid0(VALU_DEP_1) | instskip(NEXT) | instid1(VALU_DEP_1)
	v_dual_ashrrev_i32 v10, 31, v7 :: v_dual_bitop2_b32 v3, s15, v7 bitop3:0x54
	v_cmpx_ne_u64_e32 0, v[2:3]
	s_xor_b32 s1, exec_lo, s0
	s_cbranch_execz .LBB1_10
; %bb.9:                                ;   in Loop: Header=BB1_4 Depth=1
	s_ashr_i32 s60, s15, 31
	v_dual_mov_b32 v11, v10 :: v_dual_mov_b32 v15, v2
	s_mov_b32 s61, s60
	v_mov_b32_e32 v19, v2
	s_add_nc_u64 s[62:63], s[14:15], s[60:61]
	s_delay_alu instid0(VALU_DEP_2)
	v_add_nc_u64_e32 v[12:13], v[6:7], v[10:11]
	s_xor_b64 s[62:63], s[62:63], s[60:61]
	v_mov_b32_e32 v23, v2
	s_cvt_f32_u32 s0, s62
	s_cvt_f32_u32 s2, s63
	s_sub_nc_u64 s[66:67], 0, s[62:63]
	s_delay_alu instid0(VALU_DEP_2) | instskip(NEXT) | instid1(SALU_CYCLE_1)
	v_xor_b32_e32 v14, v12, v10
	s_fmamk_f32 s0, s2, 0x4f800000, s0
	v_xor_b32_e32 v18, v13, v10
	s_delay_alu instid0(SALU_CYCLE_2) | instskip(NEXT) | instid1(TRANS32_DEP_1)
	v_s_rcp_f32 s0, s0
	s_mul_f32 s0, s0, 0x5f7ffffc
	s_delay_alu instid0(SALU_CYCLE_3) | instskip(NEXT) | instid1(SALU_CYCLE_3)
	s_mul_f32 s2, s0, 0x2f800000
	s_trunc_f32 s2, s2
	s_delay_alu instid0(SALU_CYCLE_3) | instskip(SKIP_1) | instid1(SALU_CYCLE_2)
	s_fmamk_f32 s0, s2, 0xcf800000, s0
	s_cvt_u32_f32 s65, s2
	s_cvt_u32_f32 s64, s0
	s_delay_alu instid0(SALU_CYCLE_3) | instskip(NEXT) | instid1(SALU_CYCLE_1)
	s_mul_u64 s[68:69], s[66:67], s[64:65]
	s_mul_hi_u32 s71, s64, s69
	s_mul_i32 s70, s64, s69
	s_mul_hi_u32 s2, s64, s68
	s_mul_i32 s31, s65, s68
	s_add_nc_u64 s[70:71], s[2:3], s[70:71]
	s_mul_hi_u32 s0, s65, s68
	s_mul_hi_u32 s61, s65, s69
	s_add_co_u32 s2, s70, s31
	s_add_co_ci_u32 s2, s71, s0
	s_mul_i32 s68, s65, s69
	s_add_co_ci_u32 s69, s61, 0
	s_delay_alu instid0(SALU_CYCLE_1) | instskip(NEXT) | instid1(SALU_CYCLE_1)
	s_add_nc_u64 s[68:69], s[2:3], s[68:69]
	s_add_co_u32 s64, s64, s68
	s_cselect_b32 s0, -1, 0
	s_delay_alu instid0(SALU_CYCLE_1) | instskip(SKIP_1) | instid1(SALU_CYCLE_1)
	s_cmp_lg_u32 s0, 0
	s_add_co_ci_u32 s65, s65, s69
	s_mul_u64 s[66:67], s[66:67], s[64:65]
	s_delay_alu instid0(SALU_CYCLE_1)
	s_mul_hi_u32 s69, s64, s67
	s_mul_i32 s68, s64, s67
	s_mul_hi_u32 s2, s64, s66
	s_mul_i32 s31, s65, s66
	s_add_nc_u64 s[68:69], s[2:3], s[68:69]
	s_mul_hi_u32 s0, s65, s66
	s_mul_hi_u32 s61, s65, s67
	s_add_co_u32 s2, s68, s31
	s_add_co_ci_u32 s2, s69, s0
	s_mul_i32 s66, s65, s67
	s_add_co_ci_u32 s67, s61, 0
	s_delay_alu instid0(SALU_CYCLE_1) | instskip(NEXT) | instid1(SALU_CYCLE_1)
	s_add_nc_u64 s[66:67], s[2:3], s[66:67]
	s_add_co_u32 s0, s64, s66
	s_cselect_b32 s2, -1, 0
	v_nop
	v_mul_hi_u32 v22, v14, s0
	s_cmp_lg_u32 s2, 0
	s_add_co_ci_u32 s2, s65, s67
	s_and_b64 s[64:65], s[0:1], s[28:29]
	v_mul_u64_e32 v[16:17], s[2:3], v[14:15]
	v_mul_u64_e32 v[12:13], s[64:65], v[18:19]
	;; [unrolled: 1-line block ×3, first 2 shown]
	s_delay_alu instid0(VALU_DEP_3) | instskip(NEXT) | instid1(VALU_DEP_1)
	v_add_nc_u64_e32 v[16:17], v[22:23], v[16:17]
	v_add_co_u32 v3, vcc_lo, v16, v12
	s_delay_alu instid0(VALU_DEP_2) | instskip(NEXT) | instid1(VALU_DEP_4)
	v_add_co_ci_u32_e32 v22, vcc_lo, v17, v13, vcc_lo
	v_add_co_ci_u32_e32 v21, vcc_lo, 0, v21, vcc_lo
	s_delay_alu instid0(VALU_DEP_1) | instskip(NEXT) | instid1(VALU_DEP_1)
	v_add_nc_u64_e32 v[12:13], v[22:23], v[20:21]
	v_mul_u64_e32 v[16:17], s[62:63], v[12:13]
	s_delay_alu instid0(VALU_DEP_1) | instskip(NEXT) | instid1(VALU_DEP_2)
	v_sub_nc_u32_e32 v3, v18, v17
	v_sub_co_u32 v11, vcc_lo, v14, v16
	s_delay_alu instid0(VALU_DEP_1) | instskip(NEXT) | instid1(VALU_DEP_3)
	v_sub_co_ci_u32_e64 v18, null, v18, v17, vcc_lo
	v_subrev_co_ci_u32_e64 v3, null, s63, v3, vcc_lo
	s_delay_alu instid0(VALU_DEP_3) | instskip(SKIP_1) | instid1(VALU_DEP_3)
	v_sub_co_u32 v14, s0, v11, s62
	v_add_nc_u64_e32 v[16:17], 1, v[12:13]
	v_subrev_co_ci_u32_e64 v3, null, 0, v3, s0
	s_delay_alu instid0(VALU_DEP_3) | instskip(SKIP_1) | instid1(VALU_DEP_3)
	v_cmp_le_u32_e32 vcc_lo, s62, v14
	v_cndmask_b32_e64 v14, 0, -1, vcc_lo
	v_cmp_le_u32_e32 vcc_lo, s63, v3
	v_cndmask_b32_e64 v15, 0, -1, vcc_lo
	v_cmp_le_u32_e32 vcc_lo, s62, v11
	v_cndmask_b32_e64 v11, 0, -1, vcc_lo
	v_cmp_le_u32_e32 vcc_lo, s63, v18
	v_cndmask_b32_e64 v19, 0, -1, vcc_lo
	v_cmp_eq_u32_e32 vcc_lo, s63, v3
	v_cndmask_b32_e32 v3, v15, v14, vcc_lo
	v_cmp_eq_u32_e32 vcc_lo, s63, v18
	v_add_nc_u64_e32 v[14:15], 2, v[12:13]
	v_cndmask_b32_e32 v11, v19, v11, vcc_lo
	s_delay_alu instid0(VALU_DEP_4) | instskip(NEXT) | instid1(VALU_DEP_2)
	v_cmp_ne_u32_e32 vcc_lo, 0, v3
	v_cmp_ne_u32_e64 s0, 0, v11
	s_delay_alu instid0(VALU_DEP_4) | instskip(NEXT) | instid1(VALU_DEP_1)
	v_dual_cndmask_b32 v3, v17, v15, vcc_lo :: v_dual_cndmask_b32 v11, v16, v14, vcc_lo
	v_dual_cndmask_b32 v3, v13, v3, s0 :: v_dual_bitop2_b32 v14, s60, v10 bitop3:0x14
	s_delay_alu instid0(VALU_DEP_1) | instskip(NEXT) | instid1(VALU_DEP_2)
	v_dual_mov_b32 v15, v14 :: v_dual_cndmask_b32 v11, v12, v11, s0
	v_xor_b32_e32 v13, v3, v14
	s_delay_alu instid0(VALU_DEP_2) | instskip(NEXT) | instid1(VALU_DEP_1)
	v_xor_b32_e32 v12, v11, v14
	v_sub_nc_u64_e32 v[16:17], v[12:13], v[14:15]
.LBB1_10:                               ;   in Loop: Header=BB1_4 Depth=1
	s_and_not1_saveexec_b32 s0, s1
	s_cbranch_execz .LBB1_12
; %bb.11:                               ;   in Loop: Header=BB1_4 Depth=1
	v_cvt_f32_u32_e32 v3, s14
	s_sub_co_i32 s1, 0, s14
	v_mov_b32_e32 v17, v2
	s_delay_alu instid0(VALU_DEP_2) | instskip(SKIP_1) | instid1(TRANS32_DEP_1)
	v_rcp_iflag_f32_e32 v3, v3
	v_nop
	v_mul_f32_e32 v3, 0x4f7ffffe, v3
	s_delay_alu instid0(VALU_DEP_1) | instskip(NEXT) | instid1(VALU_DEP_1)
	v_cvt_u32_f32_e32 v3, v3
	v_mul_lo_u32 v11, s1, v3
	s_delay_alu instid0(VALU_DEP_1) | instskip(NEXT) | instid1(VALU_DEP_1)
	v_mul_hi_u32 v11, v3, v11
	v_add_nc_u32_e32 v3, v3, v11
	s_delay_alu instid0(VALU_DEP_1) | instskip(NEXT) | instid1(VALU_DEP_1)
	v_mul_hi_u32 v3, v6, v3
	v_mul_lo_u32 v11, v3, s14
	s_delay_alu instid0(VALU_DEP_1) | instskip(NEXT) | instid1(VALU_DEP_1)
	v_sub_nc_u32_e32 v11, v6, v11
	v_subrev_nc_u32_e32 v13, s14, v11
	v_cmp_le_u32_e32 vcc_lo, s14, v11
	s_delay_alu instid0(VALU_DEP_2) | instskip(NEXT) | instid1(VALU_DEP_1)
	v_dual_cndmask_b32 v11, v11, v13 :: v_dual_add_nc_u32 v12, 1, v3
	v_cndmask_b32_e32 v3, v3, v12, vcc_lo
	s_delay_alu instid0(VALU_DEP_2) | instskip(NEXT) | instid1(VALU_DEP_2)
	v_cmp_le_u32_e32 vcc_lo, s14, v11
	v_add_nc_u32_e32 v12, 1, v3
	s_delay_alu instid0(VALU_DEP_1)
	v_cndmask_b32_e32 v16, v3, v12, vcc_lo
.LBB1_12:                               ;   in Loop: Header=BB1_4 Depth=1
	s_or_b32 exec_lo, exec_lo, s0
	s_delay_alu instid0(VALU_DEP_1) | instskip(SKIP_1) | instid1(VALU_DEP_1)
	v_or_b32_e32 v3, s13, v17
                                        ; implicit-def: $vgpr12_vgpr13
	s_mov_b32 s0, exec_lo
	v_cmpx_ne_u64_e32 0, v[2:3]
	s_xor_b32 s1, exec_lo, s0
	s_cbranch_execz .LBB1_14
; %bb.13:                               ;   in Loop: Header=BB1_4 Depth=1
	s_ashr_i32 s60, s13, 31
	v_dual_mov_b32 v19, v2 :: v_dual_ashrrev_i32 v12, 31, v17
	s_mov_b32 s61, s60
	v_mov_b32_e32 v27, v2
	s_add_nc_u64 s[62:63], s[12:13], s[60:61]
	s_delay_alu instid0(VALU_DEP_2) | instskip(SKIP_1) | instid1(SALU_CYCLE_1)
	v_mov_b32_e32 v13, v12
	s_xor_b64 s[60:61], s[62:63], s[60:61]
	s_cvt_f32_u32 s0, s60
	s_cvt_f32_u32 s2, s61
	s_sub_nc_u64 s[64:65], 0, s[60:61]
	v_add_nc_u64_e32 v[14:15], v[16:17], v[12:13]
	v_mov_b32_e32 v23, v2
	s_fmamk_f32 s0, s2, 0x4f800000, s0
	s_delay_alu instid0(SALU_CYCLE_3) | instskip(NEXT) | instid1(VALU_DEP_2)
	v_s_rcp_f32 s0, s0
	v_xor_b32_e32 v18, v14, v12
	s_delay_alu instid0(VALU_DEP_3) | instskip(NEXT) | instid1(TRANS32_DEP_1)
	v_xor_b32_e32 v22, v15, v12
	s_mul_f32 s0, s0, 0x5f7ffffc
	s_delay_alu instid0(SALU_CYCLE_3) | instskip(NEXT) | instid1(SALU_CYCLE_3)
	s_mul_f32 s2, s0, 0x2f800000
	s_trunc_f32 s2, s2
	s_delay_alu instid0(SALU_CYCLE_3) | instskip(SKIP_1) | instid1(SALU_CYCLE_2)
	s_fmamk_f32 s0, s2, 0xcf800000, s0
	s_cvt_u32_f32 s63, s2
	s_cvt_u32_f32 s62, s0
	s_delay_alu instid0(SALU_CYCLE_3) | instskip(NEXT) | instid1(SALU_CYCLE_1)
	s_mul_u64 s[66:67], s[64:65], s[62:63]
	s_mul_hi_u32 s69, s62, s67
	s_mul_i32 s68, s62, s67
	s_mul_hi_u32 s2, s62, s66
	s_mul_i32 s31, s63, s66
	s_add_nc_u64 s[68:69], s[2:3], s[68:69]
	s_mul_hi_u32 s0, s63, s66
	s_mul_hi_u32 s70, s63, s67
	s_add_co_u32 s2, s68, s31
	s_add_co_ci_u32 s2, s69, s0
	s_mul_i32 s66, s63, s67
	s_add_co_ci_u32 s67, s70, 0
	s_delay_alu instid0(SALU_CYCLE_1) | instskip(NEXT) | instid1(SALU_CYCLE_1)
	s_add_nc_u64 s[66:67], s[2:3], s[66:67]
	s_add_co_u32 s62, s62, s66
	s_cselect_b32 s0, -1, 0
	s_delay_alu instid0(SALU_CYCLE_1) | instskip(SKIP_1) | instid1(SALU_CYCLE_1)
	s_cmp_lg_u32 s0, 0
	s_add_co_ci_u32 s63, s63, s67
	s_mul_u64 s[64:65], s[64:65], s[62:63]
	s_delay_alu instid0(SALU_CYCLE_1)
	s_mul_hi_u32 s67, s62, s65
	s_mul_i32 s66, s62, s65
	s_mul_hi_u32 s2, s62, s64
	s_mul_i32 s31, s63, s64
	s_add_nc_u64 s[66:67], s[2:3], s[66:67]
	s_mul_hi_u32 s0, s63, s64
	s_mul_hi_u32 s68, s63, s65
	s_add_co_u32 s2, s66, s31
	s_add_co_ci_u32 s2, s67, s0
	s_mul_i32 s64, s63, s65
	s_add_co_ci_u32 s65, s68, 0
	s_delay_alu instid0(SALU_CYCLE_1) | instskip(NEXT) | instid1(SALU_CYCLE_1)
	s_add_nc_u64 s[64:65], s[2:3], s[64:65]
	s_add_co_u32 s0, s62, s64
	s_cselect_b32 s2, -1, 0
	v_mul_hi_u32 v26, v18, s0
	s_cmp_lg_u32 s2, 0
	s_add_co_ci_u32 s2, s63, s65
	s_and_b64 s[62:63], s[0:1], s[28:29]
	v_mul_u64_e32 v[20:21], s[2:3], v[18:19]
	v_mul_u64_e32 v[14:15], s[62:63], v[22:23]
	;; [unrolled: 1-line block ×3, first 2 shown]
	s_delay_alu instid0(VALU_DEP_3) | instskip(NEXT) | instid1(VALU_DEP_1)
	v_add_nc_u64_e32 v[20:21], v[26:27], v[20:21]
	v_add_co_u32 v3, vcc_lo, v20, v14
	s_delay_alu instid0(VALU_DEP_2) | instskip(NEXT) | instid1(VALU_DEP_4)
	v_add_co_ci_u32_e32 v26, vcc_lo, v21, v15, vcc_lo
	v_add_co_ci_u32_e32 v25, vcc_lo, 0, v25, vcc_lo
	s_delay_alu instid0(VALU_DEP_1) | instskip(NEXT) | instid1(VALU_DEP_1)
	v_add_nc_u64_e32 v[14:15], v[26:27], v[24:25]
	v_mul_u64_e32 v[14:15], s[60:61], v[14:15]
	s_delay_alu instid0(VALU_DEP_1) | instskip(NEXT) | instid1(VALU_DEP_2)
	v_sub_nc_u32_e32 v3, v22, v15
	v_sub_co_u32 v11, vcc_lo, v18, v14
	s_delay_alu instid0(VALU_DEP_1) | instskip(NEXT) | instid1(VALU_DEP_3)
	v_sub_co_ci_u32_e64 v14, null, v22, v15, vcc_lo
	v_subrev_co_ci_u32_e64 v3, null, s61, v3, vcc_lo
	s_delay_alu instid0(VALU_DEP_3) | instskip(SKIP_1) | instid1(VALU_DEP_3)
	v_sub_co_u32 v15, vcc_lo, v11, s60
	v_cmp_le_u32_e64 s0, s60, v11
	v_subrev_co_ci_u32_e64 v18, null, 0, v3, vcc_lo
	v_subrev_co_ci_u32_e64 v3, null, s61, v3, vcc_lo
	s_delay_alu instid0(VALU_DEP_3) | instskip(SKIP_2) | instid1(VALU_DEP_2)
	v_cndmask_b32_e64 v19, 0, -1, s0
	v_cmp_le_u32_e64 s0, s60, v15
	v_cmp_le_u32_e32 vcc_lo, s61, v14
	v_cndmask_b32_e64 v20, 0, -1, s0
	v_cmp_le_u32_e64 s0, s61, v18
	v_cndmask_b32_e64 v22, 0, -1, vcc_lo
	v_cmp_eq_u32_e32 vcc_lo, s61, v18
	s_delay_alu instid0(VALU_DEP_3) | instskip(SKIP_1) | instid1(VALU_DEP_2)
	v_cndmask_b32_e64 v21, 0, -1, s0
	v_cmp_eq_u32_e64 s0, s61, v14
	v_cndmask_b32_e32 v20, v21, v20, vcc_lo
	v_sub_co_u32 v21, vcc_lo, v15, s60
	s_delay_alu instid0(VALU_DEP_1) | instskip(NEXT) | instid1(VALU_DEP_3)
	v_subrev_co_ci_u32_e64 v3, null, 0, v3, vcc_lo
	v_cmp_ne_u32_e32 vcc_lo, 0, v20
	v_cndmask_b32_e64 v19, v22, v19, s0
	s_delay_alu instid0(VALU_DEP_3) | instskip(NEXT) | instid1(VALU_DEP_2)
	v_dual_cndmask_b32 v3, v18, v3, vcc_lo :: v_dual_cndmask_b32 v15, v15, v21, vcc_lo
	v_cmp_ne_u32_e32 vcc_lo, 0, v19
	s_delay_alu instid0(VALU_DEP_2) | instskip(NEXT) | instid1(VALU_DEP_3)
	v_cndmask_b32_e32 v3, v14, v3, vcc_lo
	v_cndmask_b32_e32 v11, v11, v15, vcc_lo
	s_delay_alu instid0(VALU_DEP_2) | instskip(NEXT) | instid1(VALU_DEP_2)
	v_xor_b32_e32 v15, v3, v12
	v_xor_b32_e32 v14, v11, v12
	s_delay_alu instid0(VALU_DEP_1)
	v_sub_nc_u64_e32 v[12:13], v[14:15], v[12:13]
.LBB1_14:                               ;   in Loop: Header=BB1_4 Depth=1
	s_and_not1_saveexec_b32 s0, s1
	s_cbranch_execz .LBB1_16
; %bb.15:                               ;   in Loop: Header=BB1_4 Depth=1
	v_cvt_f32_u32_e32 v3, s12
	s_sub_co_i32 s1, 0, s12
	v_mov_b32_e32 v13, v2
	s_delay_alu instid0(VALU_DEP_2) | instskip(SKIP_1) | instid1(TRANS32_DEP_1)
	v_rcp_iflag_f32_e32 v3, v3
	v_nop
	v_mul_f32_e32 v3, 0x4f7ffffe, v3
	s_delay_alu instid0(VALU_DEP_1) | instskip(NEXT) | instid1(VALU_DEP_1)
	v_cvt_u32_f32_e32 v3, v3
	v_mul_lo_u32 v11, s1, v3
	s_delay_alu instid0(VALU_DEP_1) | instskip(NEXT) | instid1(VALU_DEP_1)
	v_mul_hi_u32 v11, v3, v11
	v_add_nc_u32_e32 v3, v3, v11
	s_delay_alu instid0(VALU_DEP_1) | instskip(NEXT) | instid1(VALU_DEP_1)
	v_mul_hi_u32 v3, v16, v3
	v_mul_lo_u32 v3, v3, s12
	s_delay_alu instid0(VALU_DEP_1) | instskip(NEXT) | instid1(VALU_DEP_1)
	v_sub_nc_u32_e32 v3, v16, v3
	v_subrev_nc_u32_e32 v11, s12, v3
	v_cmp_le_u32_e32 vcc_lo, s12, v3
	s_delay_alu instid0(VALU_DEP_2) | instskip(NEXT) | instid1(VALU_DEP_1)
	v_cndmask_b32_e32 v3, v3, v11, vcc_lo
	v_subrev_nc_u32_e32 v11, s12, v3
	v_cmp_le_u32_e32 vcc_lo, s12, v3
	s_delay_alu instid0(VALU_DEP_2)
	v_cndmask_b32_e32 v12, v3, v11, vcc_lo
.LBB1_16:                               ;   in Loop: Header=BB1_4 Depth=1
	s_or_b32 exec_lo, exec_lo, s0
	v_or_b32_e32 v3, s25, v7
                                        ; implicit-def: $vgpr14_vgpr15
	s_mov_b32 s0, exec_lo
	s_delay_alu instid0(VALU_DEP_1)
	v_cmpx_ne_u64_e32 0, v[2:3]
	s_xor_b32 s1, exec_lo, s0
	s_cbranch_execz .LBB1_18
; %bb.17:                               ;   in Loop: Header=BB1_4 Depth=1
	s_ashr_i32 s60, s25, 31
	v_dual_mov_b32 v11, v10 :: v_dual_mov_b32 v19, v2
	s_mov_b32 s61, s60
	v_mov_b32_e32 v27, v2
	s_add_nc_u64 s[62:63], s[24:25], s[60:61]
	s_delay_alu instid0(VALU_DEP_2)
	v_add_nc_u64_e32 v[14:15], v[6:7], v[10:11]
	s_xor_b64 s[62:63], s[62:63], s[60:61]
	v_mov_b32_e32 v23, v2
	s_cvt_f32_u32 s0, s62
	s_cvt_f32_u32 s2, s63
	s_sub_nc_u64 s[66:67], 0, s[62:63]
	s_delay_alu instid0(VALU_DEP_2) | instskip(NEXT) | instid1(SALU_CYCLE_1)
	v_xor_b32_e32 v18, v14, v10
	s_fmamk_f32 s0, s2, 0x4f800000, s0
	v_xor_b32_e32 v22, v15, v10
	v_xor_b32_e32 v10, s60, v10
	s_delay_alu instid0(SALU_CYCLE_1) | instskip(NEXT) | instid1(TRANS32_DEP_1)
	v_s_rcp_f32 s0, s0
	s_mul_f32 s0, s0, 0x5f7ffffc
	s_delay_alu instid0(SALU_CYCLE_3) | instskip(NEXT) | instid1(SALU_CYCLE_3)
	s_mul_f32 s2, s0, 0x2f800000
	s_trunc_f32 s2, s2
	s_delay_alu instid0(SALU_CYCLE_3) | instskip(SKIP_1) | instid1(SALU_CYCLE_2)
	s_fmamk_f32 s0, s2, 0xcf800000, s0
	s_cvt_u32_f32 s65, s2
	s_cvt_u32_f32 s64, s0
	s_delay_alu instid0(SALU_CYCLE_3) | instskip(NEXT) | instid1(SALU_CYCLE_1)
	s_mul_u64 s[68:69], s[66:67], s[64:65]
	s_mul_hi_u32 s71, s64, s69
	s_mul_i32 s70, s64, s69
	s_mul_hi_u32 s2, s64, s68
	s_mul_i32 s31, s65, s68
	s_add_nc_u64 s[70:71], s[2:3], s[70:71]
	s_mul_hi_u32 s0, s65, s68
	s_mul_hi_u32 s61, s65, s69
	s_add_co_u32 s2, s70, s31
	s_add_co_ci_u32 s2, s71, s0
	s_mul_i32 s68, s65, s69
	s_add_co_ci_u32 s69, s61, 0
	s_delay_alu instid0(SALU_CYCLE_1) | instskip(NEXT) | instid1(SALU_CYCLE_1)
	s_add_nc_u64 s[68:69], s[2:3], s[68:69]
	s_add_co_u32 s64, s64, s68
	s_cselect_b32 s0, -1, 0
	s_delay_alu instid0(SALU_CYCLE_1) | instskip(SKIP_1) | instid1(SALU_CYCLE_1)
	s_cmp_lg_u32 s0, 0
	s_add_co_ci_u32 s65, s65, s69
	s_mul_u64 s[66:67], s[66:67], s[64:65]
	s_delay_alu instid0(SALU_CYCLE_1)
	s_mul_hi_u32 s69, s64, s67
	s_mul_i32 s68, s64, s67
	s_mul_hi_u32 s2, s64, s66
	s_mul_i32 s31, s65, s66
	s_add_nc_u64 s[68:69], s[2:3], s[68:69]
	s_mul_hi_u32 s0, s65, s66
	s_mul_hi_u32 s61, s65, s67
	s_add_co_u32 s2, s68, s31
	s_add_co_ci_u32 s2, s69, s0
	s_mul_i32 s66, s65, s67
	s_add_co_ci_u32 s67, s61, 0
	s_delay_alu instid0(SALU_CYCLE_1) | instskip(NEXT) | instid1(SALU_CYCLE_1)
	s_add_nc_u64 s[66:67], s[2:3], s[66:67]
	s_add_co_u32 s0, s64, s66
	s_cselect_b32 s2, -1, 0
	v_nop
	v_mul_hi_u32 v26, v18, s0
	s_cmp_lg_u32 s2, 0
	s_add_co_ci_u32 s2, s65, s67
	s_and_b64 s[64:65], s[0:1], s[28:29]
	v_mul_u64_e32 v[20:21], s[2:3], v[18:19]
	v_mul_u64_e32 v[14:15], s[64:65], v[22:23]
	;; [unrolled: 1-line block ×3, first 2 shown]
	s_delay_alu instid0(VALU_DEP_3) | instskip(NEXT) | instid1(VALU_DEP_1)
	v_add_nc_u64_e32 v[20:21], v[26:27], v[20:21]
	v_add_co_u32 v3, vcc_lo, v20, v14
	s_delay_alu instid0(VALU_DEP_2) | instskip(NEXT) | instid1(VALU_DEP_4)
	v_add_co_ci_u32_e32 v26, vcc_lo, v21, v15, vcc_lo
	v_add_co_ci_u32_e32 v25, vcc_lo, 0, v25, vcc_lo
	s_delay_alu instid0(VALU_DEP_1) | instskip(NEXT) | instid1(VALU_DEP_1)
	v_add_nc_u64_e32 v[14:15], v[26:27], v[24:25]
	v_mul_u64_e32 v[20:21], s[62:63], v[14:15]
	s_delay_alu instid0(VALU_DEP_1) | instskip(NEXT) | instid1(VALU_DEP_2)
	v_sub_nc_u32_e32 v3, v22, v21
	v_sub_co_u32 v11, vcc_lo, v18, v20
	s_delay_alu instid0(VALU_DEP_1) | instskip(NEXT) | instid1(VALU_DEP_3)
	v_sub_co_ci_u32_e64 v22, null, v22, v21, vcc_lo
	v_subrev_co_ci_u32_e64 v3, null, s63, v3, vcc_lo
	s_delay_alu instid0(VALU_DEP_3) | instskip(SKIP_1) | instid1(VALU_DEP_3)
	v_sub_co_u32 v18, s0, v11, s62
	v_add_nc_u64_e32 v[20:21], 1, v[14:15]
	v_subrev_co_ci_u32_e64 v3, null, 0, v3, s0
	s_delay_alu instid0(VALU_DEP_3) | instskip(SKIP_1) | instid1(VALU_DEP_3)
	v_cmp_le_u32_e32 vcc_lo, s62, v18
	v_cndmask_b32_e64 v18, 0, -1, vcc_lo
	v_cmp_le_u32_e32 vcc_lo, s63, v3
	v_cndmask_b32_e64 v19, 0, -1, vcc_lo
	;; [unrolled: 2-line block ×4, first 2 shown]
	v_cmp_eq_u32_e32 vcc_lo, s63, v3
	v_cndmask_b32_e32 v3, v19, v18, vcc_lo
	v_cmp_eq_u32_e32 vcc_lo, s63, v22
	v_add_nc_u64_e32 v[18:19], 2, v[14:15]
	v_cndmask_b32_e32 v11, v23, v11, vcc_lo
	s_delay_alu instid0(VALU_DEP_4) | instskip(NEXT) | instid1(VALU_DEP_2)
	v_cmp_ne_u32_e32 vcc_lo, 0, v3
	v_cmp_ne_u32_e64 s0, 0, v11
	s_delay_alu instid0(VALU_DEP_4) | instskip(NEXT) | instid1(VALU_DEP_1)
	v_dual_cndmask_b32 v3, v21, v19, vcc_lo :: v_dual_cndmask_b32 v11, v20, v18, vcc_lo
	v_cndmask_b32_e64 v3, v15, v3, s0
	s_delay_alu instid0(VALU_DEP_2) | instskip(NEXT) | instid1(VALU_DEP_2)
	v_cndmask_b32_e64 v14, v14, v11, s0
	v_dual_mov_b32 v11, v10 :: v_dual_bitop2_b32 v15, v3, v10 bitop3:0x14
	s_delay_alu instid0(VALU_DEP_2) | instskip(NEXT) | instid1(VALU_DEP_1)
	v_xor_b32_e32 v14, v14, v10
	v_sub_nc_u64_e32 v[14:15], v[14:15], v[10:11]
.LBB1_18:                               ;   in Loop: Header=BB1_4 Depth=1
	s_and_not1_saveexec_b32 s0, s1
	s_cbranch_execz .LBB1_20
; %bb.19:                               ;   in Loop: Header=BB1_4 Depth=1
	v_cvt_f32_u32_e32 v3, s24
	s_sub_co_i32 s1, 0, s24
	v_mov_b32_e32 v15, v2
	s_delay_alu instid0(VALU_DEP_2) | instskip(SKIP_1) | instid1(TRANS32_DEP_1)
	v_rcp_iflag_f32_e32 v3, v3
	v_nop
	v_mul_f32_e32 v3, 0x4f7ffffe, v3
	s_delay_alu instid0(VALU_DEP_1) | instskip(NEXT) | instid1(VALU_DEP_1)
	v_cvt_u32_f32_e32 v3, v3
	v_mul_lo_u32 v10, s1, v3
	s_delay_alu instid0(VALU_DEP_1) | instskip(NEXT) | instid1(VALU_DEP_1)
	v_mul_hi_u32 v10, v3, v10
	v_add_nc_u32_e32 v3, v3, v10
	s_delay_alu instid0(VALU_DEP_1) | instskip(NEXT) | instid1(VALU_DEP_1)
	v_mul_hi_u32 v3, v6, v3
	v_mul_lo_u32 v10, v3, s24
	s_delay_alu instid0(VALU_DEP_1) | instskip(NEXT) | instid1(VALU_DEP_1)
	v_sub_nc_u32_e32 v10, v6, v10
	v_subrev_nc_u32_e32 v14, s24, v10
	v_cmp_le_u32_e32 vcc_lo, s24, v10
	s_delay_alu instid0(VALU_DEP_2) | instskip(NEXT) | instid1(VALU_DEP_1)
	v_dual_cndmask_b32 v10, v10, v14 :: v_dual_add_nc_u32 v11, 1, v3
	v_cndmask_b32_e32 v3, v3, v11, vcc_lo
	s_delay_alu instid0(VALU_DEP_2) | instskip(NEXT) | instid1(VALU_DEP_2)
	v_cmp_le_u32_e32 vcc_lo, s24, v10
	v_add_nc_u32_e32 v11, 1, v3
	s_delay_alu instid0(VALU_DEP_1)
	v_cndmask_b32_e32 v14, v3, v11, vcc_lo
.LBB1_20:                               ;   in Loop: Header=BB1_4 Depth=1
	s_or_b32 exec_lo, exec_lo, s0
	v_mul_u64_e32 v[16:17], s[14:15], v[16:17]
	s_mov_b32 s1, exec_lo
	s_delay_alu instid0(VALU_DEP_1) | instskip(NEXT) | instid1(VALU_DEP_1)
	v_sub_nc_u64_e32 v[10:11], v[6:7], v[16:17]
	v_add_nc_u64_e32 v[18:19], s[38:39], v[10:11]
	v_mov_b64_e32 v[10:11], 0
	s_delay_alu instid0(VALU_DEP_2)
	v_cmpx_lt_i64_e64 s[34:35], v[18:19]
	s_cbranch_execz .LBB1_26
; %bb.21:                               ;   in Loop: Header=BB1_4 Depth=1
	v_add_nc_u64_e32 v[10:11], s[58:59], v[18:19]
                                        ; implicit-def: $vgpr20_vgpr21
	s_mov_b32 s0, exec_lo
	s_delay_alu instid0(VALU_DEP_1) | instskip(NEXT) | instid1(VALU_DEP_1)
	v_or_b32_e32 v3, s43, v11
	v_cmpx_ne_u64_e32 0, v[2:3]
	s_xor_b32 s31, exec_lo, s0
	s_cbranch_execz .LBB1_23
; %bb.22:                               ;   in Loop: Header=BB1_4 Depth=1
	s_ashr_i32 s60, s43, 31
	v_dual_mov_b32 v23, v2 :: v_dual_ashrrev_i32 v20, 31, v11
	s_mov_b32 s61, s60
	v_mov_b32_e32 v31, v2
	s_add_nc_u64 s[62:63], s[42:43], s[60:61]
	s_delay_alu instid0(VALU_DEP_2) | instskip(SKIP_1) | instid1(SALU_CYCLE_1)
	v_mov_b32_e32 v21, v20
	s_xor_b64 s[62:63], s[62:63], s[60:61]
	s_cvt_f32_u32 s0, s62
	s_cvt_f32_u32 s2, s63
	s_sub_nc_u64 s[66:67], 0, s[62:63]
	v_add_nc_u64_e32 v[10:11], v[10:11], v[20:21]
	v_mov_b32_e32 v27, v2
	s_fmamk_f32 s0, s2, 0x4f800000, s0
	s_delay_alu instid0(SALU_CYCLE_3) | instskip(NEXT) | instid1(VALU_DEP_2)
	v_s_rcp_f32 s0, s0
	v_xor_b32_e32 v22, v10, v20
	s_delay_alu instid0(VALU_DEP_3) | instskip(NEXT) | instid1(TRANS32_DEP_1)
	v_xor_b32_e32 v26, v11, v20
	s_mul_f32 s0, s0, 0x5f7ffffc
	s_delay_alu instid0(SALU_CYCLE_3) | instskip(NEXT) | instid1(SALU_CYCLE_3)
	s_mul_f32 s2, s0, 0x2f800000
	s_trunc_f32 s2, s2
	s_delay_alu instid0(SALU_CYCLE_3) | instskip(SKIP_1) | instid1(SALU_CYCLE_2)
	s_fmamk_f32 s0, s2, 0xcf800000, s0
	s_cvt_u32_f32 s65, s2
	s_cvt_u32_f32 s64, s0
	s_delay_alu instid0(SALU_CYCLE_3) | instskip(NEXT) | instid1(SALU_CYCLE_1)
	s_mul_u64 s[68:69], s[66:67], s[64:65]
	s_mul_hi_u32 s71, s64, s69
	s_mul_i32 s70, s64, s69
	s_mul_hi_u32 s2, s64, s68
	s_mul_i32 s61, s65, s68
	s_add_nc_u64 s[70:71], s[2:3], s[70:71]
	s_mul_hi_u32 s0, s65, s68
	s_mul_hi_u32 s72, s65, s69
	s_add_co_u32 s2, s70, s61
	s_add_co_ci_u32 s2, s71, s0
	s_mul_i32 s68, s65, s69
	s_add_co_ci_u32 s69, s72, 0
	s_delay_alu instid0(SALU_CYCLE_1) | instskip(NEXT) | instid1(SALU_CYCLE_1)
	s_add_nc_u64 s[68:69], s[2:3], s[68:69]
	s_add_co_u32 s64, s64, s68
	s_cselect_b32 s0, -1, 0
	s_delay_alu instid0(SALU_CYCLE_1) | instskip(SKIP_1) | instid1(SALU_CYCLE_1)
	s_cmp_lg_u32 s0, 0
	s_add_co_ci_u32 s65, s65, s69
	s_mul_u64 s[66:67], s[66:67], s[64:65]
	s_delay_alu instid0(SALU_CYCLE_1)
	s_mul_hi_u32 s69, s64, s67
	s_mul_i32 s68, s64, s67
	s_mul_hi_u32 s2, s64, s66
	s_mul_i32 s61, s65, s66
	s_add_nc_u64 s[68:69], s[2:3], s[68:69]
	s_mul_hi_u32 s0, s65, s66
	s_mul_hi_u32 s70, s65, s67
	s_add_co_u32 s2, s68, s61
	s_add_co_ci_u32 s2, s69, s0
	s_mul_i32 s66, s65, s67
	s_add_co_ci_u32 s67, s70, 0
	s_delay_alu instid0(SALU_CYCLE_1) | instskip(NEXT) | instid1(SALU_CYCLE_1)
	s_add_nc_u64 s[66:67], s[2:3], s[66:67]
	s_add_co_u32 s0, s64, s66
	s_cselect_b32 s2, -1, 0
	v_mul_hi_u32 v30, v22, s0
	s_cmp_lg_u32 s2, 0
	s_add_co_ci_u32 s2, s65, s67
	s_and_b64 s[64:65], s[0:1], s[28:29]
	v_mul_u64_e32 v[24:25], s[2:3], v[22:23]
	v_mul_u64_e32 v[10:11], s[64:65], v[26:27]
	;; [unrolled: 1-line block ×3, first 2 shown]
	s_delay_alu instid0(VALU_DEP_3) | instskip(NEXT) | instid1(VALU_DEP_1)
	v_add_nc_u64_e32 v[24:25], v[30:31], v[24:25]
	v_add_co_u32 v3, vcc_lo, v24, v10
	s_delay_alu instid0(VALU_DEP_2) | instskip(NEXT) | instid1(VALU_DEP_4)
	v_add_co_ci_u32_e32 v30, vcc_lo, v25, v11, vcc_lo
	v_add_co_ci_u32_e32 v29, vcc_lo, 0, v29, vcc_lo
	s_delay_alu instid0(VALU_DEP_1) | instskip(NEXT) | instid1(VALU_DEP_1)
	v_add_nc_u64_e32 v[10:11], v[30:31], v[28:29]
	v_mul_u64_e32 v[24:25], s[62:63], v[10:11]
	s_delay_alu instid0(VALU_DEP_1) | instskip(NEXT) | instid1(VALU_DEP_2)
	v_sub_nc_u32_e32 v3, v26, v25
	v_sub_co_u32 v21, vcc_lo, v22, v24
	s_delay_alu instid0(VALU_DEP_1) | instskip(NEXT) | instid1(VALU_DEP_3)
	v_sub_co_ci_u32_e64 v26, null, v26, v25, vcc_lo
	v_subrev_co_ci_u32_e64 v3, null, s63, v3, vcc_lo
	s_delay_alu instid0(VALU_DEP_3) | instskip(SKIP_1) | instid1(VALU_DEP_3)
	v_sub_co_u32 v22, s0, v21, s62
	v_add_nc_u64_e32 v[24:25], 1, v[10:11]
	v_subrev_co_ci_u32_e64 v3, null, 0, v3, s0
	s_delay_alu instid0(VALU_DEP_3) | instskip(SKIP_1) | instid1(VALU_DEP_3)
	v_cmp_le_u32_e32 vcc_lo, s62, v22
	v_cndmask_b32_e64 v22, 0, -1, vcc_lo
	v_cmp_le_u32_e32 vcc_lo, s63, v3
	v_cndmask_b32_e64 v23, 0, -1, vcc_lo
	;; [unrolled: 2-line block ×4, first 2 shown]
	v_cmp_eq_u32_e32 vcc_lo, s63, v3
	v_cndmask_b32_e32 v3, v23, v22, vcc_lo
	v_cmp_eq_u32_e32 vcc_lo, s63, v26
	v_add_nc_u64_e32 v[22:23], 2, v[10:11]
	v_cndmask_b32_e32 v21, v27, v21, vcc_lo
	s_delay_alu instid0(VALU_DEP_4) | instskip(NEXT) | instid1(VALU_DEP_3)
	v_cmp_ne_u32_e32 vcc_lo, 0, v3
	v_cndmask_b32_e32 v3, v25, v23, vcc_lo
	s_delay_alu instid0(VALU_DEP_3) | instskip(SKIP_1) | instid1(VALU_DEP_1)
	v_cmp_ne_u32_e64 s0, 0, v21
	v_dual_cndmask_b32 v21, v24, v22, vcc_lo :: v_dual_bitop2_b32 v20, s60, v20 bitop3:0x14
	v_dual_cndmask_b32 v3, v11, v3, s0 :: v_dual_cndmask_b32 v10, v10, v21, s0
	s_delay_alu instid0(VALU_DEP_1) | instskip(NEXT) | instid1(VALU_DEP_2)
	v_dual_mov_b32 v21, v20 :: v_dual_bitop2_b32 v11, v3, v20 bitop3:0x14
	v_xor_b32_e32 v10, v10, v20
	s_delay_alu instid0(VALU_DEP_1)
	v_sub_nc_u64_e32 v[20:21], v[10:11], v[20:21]
                                        ; implicit-def: $vgpr10_vgpr11
.LBB1_23:                               ;   in Loop: Header=BB1_4 Depth=1
	s_and_not1_saveexec_b32 s0, s31
	s_cbranch_execz .LBB1_25
; %bb.24:                               ;   in Loop: Header=BB1_4 Depth=1
	v_cvt_f32_u32_e32 v3, s42
	s_sub_co_i32 s2, 0, s42
	v_mov_b32_e32 v21, v2
	s_delay_alu instid0(VALU_DEP_2) | instskip(SKIP_1) | instid1(TRANS32_DEP_1)
	v_rcp_iflag_f32_e32 v3, v3
	v_nop
	v_mul_f32_e32 v3, 0x4f7ffffe, v3
	s_delay_alu instid0(VALU_DEP_1) | instskip(NEXT) | instid1(VALU_DEP_1)
	v_cvt_u32_f32_e32 v3, v3
	v_mul_lo_u32 v11, s2, v3
	s_delay_alu instid0(VALU_DEP_1) | instskip(NEXT) | instid1(VALU_DEP_1)
	v_mul_hi_u32 v11, v3, v11
	v_add_nc_u32_e32 v3, v3, v11
	s_delay_alu instid0(VALU_DEP_1) | instskip(NEXT) | instid1(VALU_DEP_1)
	v_mul_hi_u32 v3, v10, v3
	v_mul_lo_u32 v11, v3, s42
	s_delay_alu instid0(VALU_DEP_1) | instskip(SKIP_1) | instid1(VALU_DEP_2)
	v_sub_nc_u32_e32 v10, v10, v11
	v_add_nc_u32_e32 v11, 1, v3
	v_subrev_nc_u32_e32 v20, s42, v10
	v_cmp_le_u32_e32 vcc_lo, s42, v10
	s_delay_alu instid0(VALU_DEP_2) | instskip(NEXT) | instid1(VALU_DEP_1)
	v_dual_cndmask_b32 v10, v10, v20 :: v_dual_cndmask_b32 v3, v3, v11
	v_cmp_le_u32_e32 vcc_lo, s42, v10
	s_delay_alu instid0(VALU_DEP_2) | instskip(NEXT) | instid1(VALU_DEP_1)
	v_add_nc_u32_e32 v11, 1, v3
	v_cndmask_b32_e32 v20, v3, v11, vcc_lo
.LBB1_25:                               ;   in Loop: Header=BB1_4 Depth=1
	s_or_b32 exec_lo, exec_lo, s0
	s_delay_alu instid0(VALU_DEP_1)
	v_add_nc_u64_e32 v[10:11], 1, v[20:21]
.LBB1_26:                               ;   in Loop: Header=BB1_4 Depth=1
	s_or_b32 exec_lo, exec_lo, s1
	v_or_b32_e32 v3, s43, v19
                                        ; implicit-def: $vgpr22_vgpr23
	s_mov_b32 s0, exec_lo
	s_delay_alu instid0(VALU_DEP_1)
	v_cmpx_ne_u64_e32 0, v[2:3]
	s_xor_b32 s1, exec_lo, s0
	s_cbranch_execz .LBB1_28
; %bb.27:                               ;   in Loop: Header=BB1_4 Depth=1
	s_ashr_i32 s60, s43, 31
	v_dual_mov_b32 v23, v2 :: v_dual_ashrrev_i32 v20, 31, v19
	s_mov_b32 s61, s60
	v_mov_b32_e32 v31, v2
	s_add_nc_u64 s[62:63], s[42:43], s[60:61]
	s_delay_alu instid0(VALU_DEP_2) | instskip(SKIP_1) | instid1(SALU_CYCLE_1)
	v_mov_b32_e32 v21, v20
	s_xor_b64 s[62:63], s[62:63], s[60:61]
	s_cvt_f32_u32 s0, s62
	s_cvt_f32_u32 s2, s63
	s_sub_nc_u64 s[66:67], 0, s[62:63]
	v_add_nc_u64_e32 v[18:19], v[18:19], v[20:21]
	v_mov_b32_e32 v27, v2
	s_fmamk_f32 s0, s2, 0x4f800000, s0
	s_delay_alu instid0(SALU_CYCLE_3) | instskip(NEXT) | instid1(VALU_DEP_2)
	v_s_rcp_f32 s0, s0
	v_xor_b32_e32 v22, v18, v20
	s_delay_alu instid0(VALU_DEP_3) | instskip(NEXT) | instid1(TRANS32_DEP_1)
	v_xor_b32_e32 v26, v19, v20
	s_mul_f32 s0, s0, 0x5f7ffffc
	s_delay_alu instid0(SALU_CYCLE_3) | instskip(NEXT) | instid1(SALU_CYCLE_3)
	s_mul_f32 s2, s0, 0x2f800000
	s_trunc_f32 s2, s2
	s_delay_alu instid0(SALU_CYCLE_3) | instskip(SKIP_1) | instid1(SALU_CYCLE_2)
	s_fmamk_f32 s0, s2, 0xcf800000, s0
	s_cvt_u32_f32 s65, s2
	s_cvt_u32_f32 s64, s0
	s_delay_alu instid0(SALU_CYCLE_3) | instskip(NEXT) | instid1(SALU_CYCLE_1)
	s_mul_u64 s[68:69], s[66:67], s[64:65]
	s_mul_hi_u32 s71, s64, s69
	s_mul_i32 s70, s64, s69
	s_mul_hi_u32 s2, s64, s68
	s_mul_i32 s31, s65, s68
	s_add_nc_u64 s[70:71], s[2:3], s[70:71]
	s_mul_hi_u32 s0, s65, s68
	s_mul_hi_u32 s61, s65, s69
	s_add_co_u32 s2, s70, s31
	s_add_co_ci_u32 s2, s71, s0
	s_mul_i32 s68, s65, s69
	s_add_co_ci_u32 s69, s61, 0
	s_delay_alu instid0(SALU_CYCLE_1) | instskip(NEXT) | instid1(SALU_CYCLE_1)
	s_add_nc_u64 s[68:69], s[2:3], s[68:69]
	s_add_co_u32 s64, s64, s68
	s_cselect_b32 s0, -1, 0
	s_delay_alu instid0(SALU_CYCLE_1) | instskip(SKIP_1) | instid1(SALU_CYCLE_1)
	s_cmp_lg_u32 s0, 0
	s_add_co_ci_u32 s65, s65, s69
	s_mul_u64 s[66:67], s[66:67], s[64:65]
	s_delay_alu instid0(SALU_CYCLE_1)
	s_mul_hi_u32 s69, s64, s67
	s_mul_i32 s68, s64, s67
	s_mul_hi_u32 s2, s64, s66
	s_mul_i32 s31, s65, s66
	s_add_nc_u64 s[68:69], s[2:3], s[68:69]
	s_mul_hi_u32 s0, s65, s66
	s_mul_hi_u32 s61, s65, s67
	s_add_co_u32 s2, s68, s31
	s_add_co_ci_u32 s2, s69, s0
	s_mul_i32 s66, s65, s67
	s_add_co_ci_u32 s67, s61, 0
	s_delay_alu instid0(SALU_CYCLE_1) | instskip(NEXT) | instid1(SALU_CYCLE_1)
	s_add_nc_u64 s[66:67], s[2:3], s[66:67]
	s_add_co_u32 s0, s64, s66
	s_cselect_b32 s2, -1, 0
	v_mul_hi_u32 v30, v22, s0
	s_cmp_lg_u32 s2, 0
	s_add_co_ci_u32 s2, s65, s67
	s_and_b64 s[64:65], s[0:1], s[28:29]
	v_mul_u64_e32 v[24:25], s[2:3], v[22:23]
	v_mul_u64_e32 v[18:19], s[64:65], v[26:27]
	;; [unrolled: 1-line block ×3, first 2 shown]
	s_delay_alu instid0(VALU_DEP_3) | instskip(NEXT) | instid1(VALU_DEP_1)
	v_add_nc_u64_e32 v[24:25], v[30:31], v[24:25]
	v_add_co_u32 v3, vcc_lo, v24, v18
	s_delay_alu instid0(VALU_DEP_2) | instskip(NEXT) | instid1(VALU_DEP_4)
	v_add_co_ci_u32_e32 v30, vcc_lo, v25, v19, vcc_lo
	v_add_co_ci_u32_e32 v29, vcc_lo, 0, v29, vcc_lo
	s_delay_alu instid0(VALU_DEP_1) | instskip(NEXT) | instid1(VALU_DEP_1)
	v_add_nc_u64_e32 v[18:19], v[30:31], v[28:29]
	v_mul_u64_e32 v[24:25], s[62:63], v[18:19]
	s_delay_alu instid0(VALU_DEP_1) | instskip(NEXT) | instid1(VALU_DEP_2)
	v_sub_nc_u32_e32 v3, v26, v25
	v_sub_co_u32 v21, vcc_lo, v22, v24
	s_delay_alu instid0(VALU_DEP_1) | instskip(NEXT) | instid1(VALU_DEP_3)
	v_sub_co_ci_u32_e64 v26, null, v26, v25, vcc_lo
	v_subrev_co_ci_u32_e64 v3, null, s63, v3, vcc_lo
	s_delay_alu instid0(VALU_DEP_3) | instskip(SKIP_1) | instid1(VALU_DEP_3)
	v_sub_co_u32 v22, s0, v21, s62
	v_add_nc_u64_e32 v[24:25], 1, v[18:19]
	v_subrev_co_ci_u32_e64 v3, null, 0, v3, s0
	s_delay_alu instid0(VALU_DEP_3) | instskip(SKIP_1) | instid1(VALU_DEP_3)
	v_cmp_le_u32_e32 vcc_lo, s62, v22
	v_cndmask_b32_e64 v22, 0, -1, vcc_lo
	v_cmp_le_u32_e32 vcc_lo, s63, v3
	v_cndmask_b32_e64 v23, 0, -1, vcc_lo
	;; [unrolled: 2-line block ×4, first 2 shown]
	v_cmp_eq_u32_e32 vcc_lo, s63, v3
	v_cndmask_b32_e32 v3, v23, v22, vcc_lo
	v_cmp_eq_u32_e32 vcc_lo, s63, v26
	v_add_nc_u64_e32 v[22:23], 2, v[18:19]
	v_cndmask_b32_e32 v21, v27, v21, vcc_lo
	s_delay_alu instid0(VALU_DEP_4) | instskip(NEXT) | instid1(VALU_DEP_3)
	v_cmp_ne_u32_e32 vcc_lo, 0, v3
	v_cndmask_b32_e32 v3, v25, v23, vcc_lo
	s_delay_alu instid0(VALU_DEP_3) | instskip(SKIP_1) | instid1(VALU_DEP_1)
	v_cmp_ne_u32_e64 s0, 0, v21
	v_dual_cndmask_b32 v21, v24, v22, vcc_lo :: v_dual_bitop2_b32 v20, s60, v20 bitop3:0x14
	v_dual_cndmask_b32 v3, v19, v3, s0 :: v_dual_cndmask_b32 v18, v18, v21, s0
	s_delay_alu instid0(VALU_DEP_1) | instskip(NEXT) | instid1(VALU_DEP_2)
	v_dual_mov_b32 v21, v20 :: v_dual_bitop2_b32 v19, v3, v20 bitop3:0x14
	v_xor_b32_e32 v18, v18, v20
	s_delay_alu instid0(VALU_DEP_1)
	v_sub_nc_u64_e32 v[22:23], v[18:19], v[20:21]
                                        ; implicit-def: $vgpr18_vgpr19
.LBB1_28:                               ;   in Loop: Header=BB1_4 Depth=1
	s_and_not1_saveexec_b32 s0, s1
	s_cbranch_execz .LBB1_30
; %bb.29:                               ;   in Loop: Header=BB1_4 Depth=1
	v_cvt_f32_u32_e32 v3, s42
	s_sub_co_i32 s1, 0, s42
	v_mov_b32_e32 v23, v2
	s_delay_alu instid0(VALU_DEP_2) | instskip(SKIP_1) | instid1(TRANS32_DEP_1)
	v_rcp_iflag_f32_e32 v3, v3
	v_nop
	v_mul_f32_e32 v3, 0x4f7ffffe, v3
	s_delay_alu instid0(VALU_DEP_1) | instskip(NEXT) | instid1(VALU_DEP_1)
	v_cvt_u32_f32_e32 v3, v3
	v_mul_lo_u32 v19, s1, v3
	s_delay_alu instid0(VALU_DEP_1) | instskip(NEXT) | instid1(VALU_DEP_1)
	v_mul_hi_u32 v19, v3, v19
	v_add_nc_u32_e32 v3, v3, v19
	s_delay_alu instid0(VALU_DEP_1) | instskip(NEXT) | instid1(VALU_DEP_1)
	v_mul_hi_u32 v3, v18, v3
	v_mul_lo_u32 v19, v3, s42
	s_delay_alu instid0(VALU_DEP_1) | instskip(SKIP_1) | instid1(VALU_DEP_2)
	v_sub_nc_u32_e32 v18, v18, v19
	v_add_nc_u32_e32 v19, 1, v3
	v_subrev_nc_u32_e32 v20, s42, v18
	v_cmp_le_u32_e32 vcc_lo, s42, v18
	s_delay_alu instid0(VALU_DEP_2) | instskip(NEXT) | instid1(VALU_DEP_1)
	v_dual_cndmask_b32 v18, v18, v20 :: v_dual_cndmask_b32 v3, v3, v19
	v_cmp_le_u32_e32 vcc_lo, s42, v18
	s_delay_alu instid0(VALU_DEP_2) | instskip(NEXT) | instid1(VALU_DEP_1)
	v_add_nc_u32_e32 v19, 1, v3
	v_cndmask_b32_e32 v22, v3, v19, vcc_lo
.LBB1_30:                               ;   in Loop: Header=BB1_4 Depth=1
	s_or_b32 exec_lo, exec_lo, s0
	v_add_nc_u64_e32 v[12:13], s[36:37], v[12:13]
	v_mov_b64_e32 v[18:19], 0
	s_mov_b32 s1, exec_lo
	s_delay_alu instid0(VALU_DEP_2)
	v_cmpx_lt_i64_e64 s[52:53], v[12:13]
	s_cbranch_execz .LBB1_36
; %bb.31:                               ;   in Loop: Header=BB1_4 Depth=1
	v_add_nc_u64_e32 v[18:19], s[56:57], v[12:13]
                                        ; implicit-def: $vgpr20_vgpr21
	s_mov_b32 s0, exec_lo
	s_delay_alu instid0(VALU_DEP_1) | instskip(NEXT) | instid1(VALU_DEP_1)
	v_or_b32_e32 v3, s41, v19
	v_cmpx_ne_u64_e32 0, v[2:3]
	s_xor_b32 s31, exec_lo, s0
	s_cbranch_execz .LBB1_33
; %bb.32:                               ;   in Loop: Header=BB1_4 Depth=1
	s_ashr_i32 s60, s41, 31
	v_dual_mov_b32 v25, v2 :: v_dual_ashrrev_i32 v20, 31, v19
	s_mov_b32 s61, s60
	s_delay_alu instid0(SALU_CYCLE_1) | instskip(NEXT) | instid1(VALU_DEP_1)
	s_add_nc_u64 s[62:63], s[40:41], s[60:61]
	v_mov_b32_e32 v21, v20
	s_xor_b64 s[62:63], s[62:63], s[60:61]
	s_delay_alu instid0(SALU_CYCLE_1)
	s_cvt_f32_u32 s0, s62
	s_cvt_f32_u32 s2, s63
	s_sub_nc_u64 s[66:67], 0, s[62:63]
	v_add_nc_u64_e32 v[18:19], v[18:19], v[20:21]
	v_mov_b32_e32 v29, v2
	s_fmamk_f32 s0, s2, 0x4f800000, s0
	s_delay_alu instid0(SALU_CYCLE_3) | instskip(NEXT) | instid1(VALU_DEP_2)
	v_s_rcp_f32 s0, s0
	v_xor_b32_e32 v24, v18, v20
	s_delay_alu instid0(VALU_DEP_3) | instskip(SKIP_1) | instid1(TRANS32_DEP_1)
	v_dual_mov_b32 v33, v2 :: v_dual_bitop2_b32 v28, v19, v20 bitop3:0x14
	v_xor_b32_e32 v20, s60, v20
	s_mul_f32 s0, s0, 0x5f7ffffc
	s_delay_alu instid0(SALU_CYCLE_3) | instskip(NEXT) | instid1(SALU_CYCLE_3)
	s_mul_f32 s2, s0, 0x2f800000
	s_trunc_f32 s2, s2
	s_delay_alu instid0(SALU_CYCLE_3) | instskip(SKIP_1) | instid1(SALU_CYCLE_2)
	s_fmamk_f32 s0, s2, 0xcf800000, s0
	s_cvt_u32_f32 s65, s2
	s_cvt_u32_f32 s64, s0
	s_delay_alu instid0(SALU_CYCLE_3) | instskip(NEXT) | instid1(SALU_CYCLE_1)
	s_mul_u64 s[68:69], s[66:67], s[64:65]
	s_mul_hi_u32 s71, s64, s69
	s_mul_i32 s70, s64, s69
	s_mul_hi_u32 s2, s64, s68
	s_mul_i32 s61, s65, s68
	s_add_nc_u64 s[70:71], s[2:3], s[70:71]
	s_mul_hi_u32 s0, s65, s68
	s_mul_hi_u32 s72, s65, s69
	s_add_co_u32 s2, s70, s61
	s_add_co_ci_u32 s2, s71, s0
	s_mul_i32 s68, s65, s69
	s_add_co_ci_u32 s69, s72, 0
	s_delay_alu instid0(SALU_CYCLE_1) | instskip(NEXT) | instid1(SALU_CYCLE_1)
	s_add_nc_u64 s[68:69], s[2:3], s[68:69]
	s_add_co_u32 s64, s64, s68
	s_cselect_b32 s0, -1, 0
	s_delay_alu instid0(SALU_CYCLE_1) | instskip(SKIP_1) | instid1(SALU_CYCLE_1)
	s_cmp_lg_u32 s0, 0
	s_add_co_ci_u32 s65, s65, s69
	s_mul_u64 s[66:67], s[66:67], s[64:65]
	s_delay_alu instid0(SALU_CYCLE_1)
	s_mul_hi_u32 s69, s64, s67
	s_mul_i32 s68, s64, s67
	s_mul_hi_u32 s2, s64, s66
	s_mul_i32 s61, s65, s66
	s_add_nc_u64 s[68:69], s[2:3], s[68:69]
	s_mul_hi_u32 s0, s65, s66
	s_mul_hi_u32 s70, s65, s67
	s_add_co_u32 s2, s68, s61
	s_add_co_ci_u32 s2, s69, s0
	s_mul_i32 s66, s65, s67
	s_add_co_ci_u32 s67, s70, 0
	s_delay_alu instid0(SALU_CYCLE_1) | instskip(NEXT) | instid1(SALU_CYCLE_1)
	s_add_nc_u64 s[66:67], s[2:3], s[66:67]
	s_add_co_u32 s0, s64, s66
	s_cselect_b32 s2, -1, 0
	v_mul_hi_u32 v32, v24, s0
	s_cmp_lg_u32 s2, 0
	s_add_co_ci_u32 s2, s65, s67
	s_and_b64 s[64:65], s[0:1], s[28:29]
	v_mul_u64_e32 v[26:27], s[2:3], v[24:25]
	v_mul_u64_e32 v[18:19], s[64:65], v[28:29]
	;; [unrolled: 1-line block ×3, first 2 shown]
	s_delay_alu instid0(VALU_DEP_3) | instskip(NEXT) | instid1(VALU_DEP_1)
	v_add_nc_u64_e32 v[26:27], v[32:33], v[26:27]
	v_add_co_u32 v3, vcc_lo, v26, v18
	s_delay_alu instid0(VALU_DEP_2) | instskip(NEXT) | instid1(VALU_DEP_4)
	v_add_co_ci_u32_e32 v32, vcc_lo, v27, v19, vcc_lo
	v_add_co_ci_u32_e32 v31, vcc_lo, 0, v31, vcc_lo
	s_delay_alu instid0(VALU_DEP_1) | instskip(NEXT) | instid1(VALU_DEP_1)
	v_add_nc_u64_e32 v[18:19], v[32:33], v[30:31]
	v_mul_u64_e32 v[26:27], s[62:63], v[18:19]
	s_delay_alu instid0(VALU_DEP_1) | instskip(NEXT) | instid1(VALU_DEP_2)
	v_sub_nc_u32_e32 v3, v28, v27
	v_sub_co_u32 v21, vcc_lo, v24, v26
	s_delay_alu instid0(VALU_DEP_1) | instskip(NEXT) | instid1(VALU_DEP_3)
	v_sub_co_ci_u32_e64 v28, null, v28, v27, vcc_lo
	v_subrev_co_ci_u32_e64 v3, null, s63, v3, vcc_lo
	s_delay_alu instid0(VALU_DEP_3) | instskip(SKIP_1) | instid1(VALU_DEP_3)
	v_sub_co_u32 v24, s0, v21, s62
	v_add_nc_u64_e32 v[26:27], 1, v[18:19]
	v_subrev_co_ci_u32_e64 v3, null, 0, v3, s0
	s_delay_alu instid0(VALU_DEP_3) | instskip(SKIP_1) | instid1(VALU_DEP_3)
	v_cmp_le_u32_e32 vcc_lo, s62, v24
	v_cndmask_b32_e64 v24, 0, -1, vcc_lo
	v_cmp_le_u32_e32 vcc_lo, s63, v3
	v_cndmask_b32_e64 v25, 0, -1, vcc_lo
	;; [unrolled: 2-line block ×4, first 2 shown]
	v_cmp_eq_u32_e32 vcc_lo, s63, v3
	v_cndmask_b32_e32 v3, v25, v24, vcc_lo
	v_cmp_eq_u32_e32 vcc_lo, s63, v28
	v_add_nc_u64_e32 v[24:25], 2, v[18:19]
	v_cndmask_b32_e32 v21, v29, v21, vcc_lo
	s_delay_alu instid0(VALU_DEP_4) | instskip(NEXT) | instid1(VALU_DEP_2)
	v_cmp_ne_u32_e32 vcc_lo, 0, v3
	v_cmp_ne_u32_e64 s0, 0, v21
	s_delay_alu instid0(VALU_DEP_4) | instskip(NEXT) | instid1(VALU_DEP_1)
	v_dual_cndmask_b32 v3, v27, v25, vcc_lo :: v_dual_cndmask_b32 v21, v26, v24, vcc_lo
	v_dual_cndmask_b32 v18, v18, v21, s0 :: v_dual_mov_b32 v21, v20
	s_delay_alu instid0(VALU_DEP_1) | instskip(NEXT) | instid1(VALU_DEP_1)
	v_dual_cndmask_b32 v3, v19, v3, s0 :: v_dual_bitop2_b32 v18, v18, v20 bitop3:0x14
	v_xor_b32_e32 v19, v3, v20
	s_delay_alu instid0(VALU_DEP_1)
	v_sub_nc_u64_e32 v[20:21], v[18:19], v[20:21]
                                        ; implicit-def: $vgpr18_vgpr19
.LBB1_33:                               ;   in Loop: Header=BB1_4 Depth=1
	s_and_not1_saveexec_b32 s0, s31
	s_cbranch_execz .LBB1_35
; %bb.34:                               ;   in Loop: Header=BB1_4 Depth=1
	v_cvt_f32_u32_e32 v3, s40
	s_sub_co_i32 s2, 0, s40
	v_mov_b32_e32 v21, v2
	s_delay_alu instid0(VALU_DEP_2) | instskip(SKIP_1) | instid1(TRANS32_DEP_1)
	v_rcp_iflag_f32_e32 v3, v3
	v_nop
	v_mul_f32_e32 v3, 0x4f7ffffe, v3
	s_delay_alu instid0(VALU_DEP_1) | instskip(NEXT) | instid1(VALU_DEP_1)
	v_cvt_u32_f32_e32 v3, v3
	v_mul_lo_u32 v19, s2, v3
	s_delay_alu instid0(VALU_DEP_1) | instskip(NEXT) | instid1(VALU_DEP_1)
	v_mul_hi_u32 v19, v3, v19
	v_add_nc_u32_e32 v3, v3, v19
	s_delay_alu instid0(VALU_DEP_1) | instskip(NEXT) | instid1(VALU_DEP_1)
	v_mul_hi_u32 v3, v18, v3
	v_mul_lo_u32 v19, v3, s40
	s_delay_alu instid0(VALU_DEP_1) | instskip(SKIP_1) | instid1(VALU_DEP_2)
	v_sub_nc_u32_e32 v18, v18, v19
	v_add_nc_u32_e32 v19, 1, v3
	v_subrev_nc_u32_e32 v20, s40, v18
	v_cmp_le_u32_e32 vcc_lo, s40, v18
	s_delay_alu instid0(VALU_DEP_2) | instskip(NEXT) | instid1(VALU_DEP_1)
	v_dual_cndmask_b32 v18, v18, v20 :: v_dual_cndmask_b32 v3, v3, v19
	v_cmp_le_u32_e32 vcc_lo, s40, v18
	s_delay_alu instid0(VALU_DEP_2) | instskip(NEXT) | instid1(VALU_DEP_1)
	v_add_nc_u32_e32 v19, 1, v3
	v_cndmask_b32_e32 v20, v3, v19, vcc_lo
.LBB1_35:                               ;   in Loop: Header=BB1_4 Depth=1
	s_or_b32 exec_lo, exec_lo, s0
	s_delay_alu instid0(VALU_DEP_1)
	v_add_nc_u64_e32 v[18:19], 1, v[20:21]
.LBB1_36:                               ;   in Loop: Header=BB1_4 Depth=1
	s_or_b32 exec_lo, exec_lo, s1
	v_or_b32_e32 v3, s41, v13
                                        ; implicit-def: $vgpr20_vgpr21
	s_mov_b32 s0, exec_lo
	s_delay_alu instid0(VALU_DEP_1)
	v_cmpx_ne_u64_e32 0, v[2:3]
	s_xor_b32 s1, exec_lo, s0
	s_cbranch_execz .LBB1_38
; %bb.37:                               ;   in Loop: Header=BB1_4 Depth=1
	s_ashr_i32 s60, s41, 31
	v_dual_mov_b32 v27, v2 :: v_dual_ashrrev_i32 v20, 31, v13
	s_mov_b32 s61, s60
	v_mov_b32_e32 v31, v2
	s_add_nc_u64 s[62:63], s[40:41], s[60:61]
	s_delay_alu instid0(VALU_DEP_2)
	v_mov_b32_e32 v21, v20
	s_xor_b64 s[62:63], s[62:63], s[60:61]
	v_mov_b32_e32 v37, v2
	s_cvt_f32_u32 s0, s62
	s_cvt_f32_u32 s2, s63
	s_sub_nc_u64 s[66:67], 0, s[62:63]
	v_add_nc_u64_e32 v[24:25], v[12:13], v[20:21]
	s_delay_alu instid0(SALU_CYCLE_1) | instskip(NEXT) | instid1(SALU_CYCLE_3)
	s_fmamk_f32 s0, s2, 0x4f800000, s0
	v_s_rcp_f32 s0, s0
	s_delay_alu instid0(VALU_DEP_1) | instskip(NEXT) | instid1(VALU_DEP_2)
	v_xor_b32_e32 v26, v24, v20
	v_xor_b32_e32 v30, v25, v20
	s_delay_alu instid0(TRANS32_DEP_1) | instskip(NEXT) | instid1(SALU_CYCLE_3)
	s_mul_f32 s0, s0, 0x5f7ffffc
	s_mul_f32 s2, s0, 0x2f800000
	s_delay_alu instid0(SALU_CYCLE_3) | instskip(NEXT) | instid1(SALU_CYCLE_3)
	s_trunc_f32 s2, s2
	s_fmamk_f32 s0, s2, 0xcf800000, s0
	s_cvt_u32_f32 s65, s2
	s_delay_alu instid0(SALU_CYCLE_2) | instskip(NEXT) | instid1(SALU_CYCLE_3)
	s_cvt_u32_f32 s64, s0
	s_mul_u64 s[68:69], s[66:67], s[64:65]
	s_delay_alu instid0(SALU_CYCLE_1)
	s_mul_hi_u32 s71, s64, s69
	s_mul_i32 s70, s64, s69
	s_mul_hi_u32 s2, s64, s68
	s_mul_i32 s31, s65, s68
	s_add_nc_u64 s[70:71], s[2:3], s[70:71]
	s_mul_hi_u32 s0, s65, s68
	s_mul_hi_u32 s61, s65, s69
	s_add_co_u32 s2, s70, s31
	s_add_co_ci_u32 s2, s71, s0
	s_mul_i32 s68, s65, s69
	s_add_co_ci_u32 s69, s61, 0
	s_delay_alu instid0(SALU_CYCLE_1) | instskip(NEXT) | instid1(SALU_CYCLE_1)
	s_add_nc_u64 s[68:69], s[2:3], s[68:69]
	s_add_co_u32 s64, s64, s68
	s_cselect_b32 s0, -1, 0
	s_delay_alu instid0(SALU_CYCLE_1) | instskip(SKIP_1) | instid1(SALU_CYCLE_1)
	s_cmp_lg_u32 s0, 0
	s_add_co_ci_u32 s65, s65, s69
	s_mul_u64 s[66:67], s[66:67], s[64:65]
	s_delay_alu instid0(SALU_CYCLE_1)
	s_mul_hi_u32 s69, s64, s67
	s_mul_i32 s68, s64, s67
	s_mul_hi_u32 s2, s64, s66
	s_mul_i32 s31, s65, s66
	s_add_nc_u64 s[68:69], s[2:3], s[68:69]
	s_mul_hi_u32 s0, s65, s66
	s_mul_hi_u32 s61, s65, s67
	s_add_co_u32 s2, s68, s31
	s_add_co_ci_u32 s2, s69, s0
	s_mul_i32 s66, s65, s67
	s_add_co_ci_u32 s67, s61, 0
	s_delay_alu instid0(SALU_CYCLE_1) | instskip(NEXT) | instid1(SALU_CYCLE_1)
	s_add_nc_u64 s[66:67], s[2:3], s[66:67]
	s_add_co_u32 s0, s64, s66
	s_cselect_b32 s2, -1, 0
	v_mul_hi_u32 v36, v26, s0
	s_cmp_lg_u32 s2, 0
	s_add_co_ci_u32 s2, s65, s67
	s_and_b64 s[64:65], s[0:1], s[28:29]
	v_mul_u64_e32 v[28:29], s[2:3], v[26:27]
	v_mul_u64_e32 v[24:25], s[64:65], v[30:31]
	;; [unrolled: 1-line block ×3, first 2 shown]
	s_delay_alu instid0(VALU_DEP_3) | instskip(NEXT) | instid1(VALU_DEP_1)
	v_add_nc_u64_e32 v[28:29], v[36:37], v[28:29]
	v_add_co_u32 v3, vcc_lo, v28, v24
	s_delay_alu instid0(VALU_DEP_2) | instskip(NEXT) | instid1(VALU_DEP_4)
	v_add_co_ci_u32_e32 v36, vcc_lo, v29, v25, vcc_lo
	v_add_co_ci_u32_e32 v33, vcc_lo, 0, v33, vcc_lo
	s_delay_alu instid0(VALU_DEP_1) | instskip(NEXT) | instid1(VALU_DEP_1)
	v_add_nc_u64_e32 v[24:25], v[36:37], v[32:33]
	v_mul_u64_e32 v[28:29], s[62:63], v[24:25]
	s_delay_alu instid0(VALU_DEP_1) | instskip(NEXT) | instid1(VALU_DEP_2)
	v_sub_nc_u32_e32 v3, v30, v29
	v_sub_co_u32 v21, vcc_lo, v26, v28
	s_delay_alu instid0(VALU_DEP_1) | instskip(NEXT) | instid1(VALU_DEP_3)
	v_sub_co_ci_u32_e64 v30, null, v30, v29, vcc_lo
	v_subrev_co_ci_u32_e64 v3, null, s63, v3, vcc_lo
	s_delay_alu instid0(VALU_DEP_3) | instskip(SKIP_1) | instid1(VALU_DEP_3)
	v_sub_co_u32 v26, s0, v21, s62
	v_add_nc_u64_e32 v[28:29], 1, v[24:25]
	v_subrev_co_ci_u32_e64 v3, null, 0, v3, s0
	s_delay_alu instid0(VALU_DEP_3) | instskip(SKIP_1) | instid1(VALU_DEP_3)
	v_cmp_le_u32_e32 vcc_lo, s62, v26
	v_cndmask_b32_e64 v26, 0, -1, vcc_lo
	v_cmp_le_u32_e32 vcc_lo, s63, v3
	v_cndmask_b32_e64 v27, 0, -1, vcc_lo
	;; [unrolled: 2-line block ×4, first 2 shown]
	v_cmp_eq_u32_e32 vcc_lo, s63, v3
	v_cndmask_b32_e32 v3, v27, v26, vcc_lo
	v_cmp_eq_u32_e32 vcc_lo, s63, v30
	v_add_nc_u64_e32 v[26:27], 2, v[24:25]
	v_cndmask_b32_e32 v21, v31, v21, vcc_lo
	s_delay_alu instid0(VALU_DEP_4) | instskip(NEXT) | instid1(VALU_DEP_3)
	v_cmp_ne_u32_e32 vcc_lo, 0, v3
	v_cndmask_b32_e32 v3, v29, v27, vcc_lo
	s_delay_alu instid0(VALU_DEP_3) | instskip(SKIP_1) | instid1(VALU_DEP_1)
	v_cmp_ne_u32_e64 s0, 0, v21
	v_dual_cndmask_b32 v21, v28, v26, vcc_lo :: v_dual_bitop2_b32 v20, s60, v20 bitop3:0x14
	v_dual_cndmask_b32 v3, v25, v3, s0 :: v_dual_cndmask_b32 v24, v24, v21, s0
	s_delay_alu instid0(VALU_DEP_1) | instskip(NEXT) | instid1(VALU_DEP_2)
	v_dual_mov_b32 v21, v20 :: v_dual_bitop2_b32 v25, v3, v20 bitop3:0x14
	v_xor_b32_e32 v24, v24, v20
	s_delay_alu instid0(VALU_DEP_1)
	v_sub_nc_u64_e32 v[20:21], v[24:25], v[20:21]
.LBB1_38:                               ;   in Loop: Header=BB1_4 Depth=1
	s_and_not1_saveexec_b32 s0, s1
	s_cbranch_execz .LBB1_40
; %bb.39:                               ;   in Loop: Header=BB1_4 Depth=1
	v_cvt_f32_u32_e32 v3, s40
	s_sub_co_i32 s1, 0, s40
	s_delay_alu instid0(VALU_DEP_1) | instskip(SKIP_1) | instid1(TRANS32_DEP_1)
	v_rcp_iflag_f32_e32 v3, v3
	v_nop
	v_mul_f32_e32 v3, 0x4f7ffffe, v3
	s_delay_alu instid0(VALU_DEP_1) | instskip(NEXT) | instid1(VALU_DEP_1)
	v_cvt_u32_f32_e32 v3, v3
	v_mul_lo_u32 v20, s1, v3
	s_delay_alu instid0(VALU_DEP_1) | instskip(NEXT) | instid1(VALU_DEP_1)
	v_mul_hi_u32 v20, v3, v20
	v_add_nc_u32_e32 v3, v3, v20
	s_delay_alu instid0(VALU_DEP_1) | instskip(NEXT) | instid1(VALU_DEP_1)
	v_mul_hi_u32 v3, v12, v3
	v_mul_lo_u32 v20, v3, s40
	s_delay_alu instid0(VALU_DEP_1) | instskip(NEXT) | instid1(VALU_DEP_1)
	v_sub_nc_u32_e32 v20, v12, v20
	v_subrev_nc_u32_e32 v24, s40, v20
	v_cmp_le_u32_e32 vcc_lo, s40, v20
	s_delay_alu instid0(VALU_DEP_2) | instskip(NEXT) | instid1(VALU_DEP_1)
	v_dual_cndmask_b32 v20, v20, v24 :: v_dual_add_nc_u32 v21, 1, v3
	v_cndmask_b32_e32 v3, v3, v21, vcc_lo
	s_delay_alu instid0(VALU_DEP_2) | instskip(NEXT) | instid1(VALU_DEP_2)
	v_cmp_le_u32_e32 vcc_lo, s40, v20
	v_add_nc_u32_e32 v21, 1, v3
	s_delay_alu instid0(VALU_DEP_1)
	v_dual_cndmask_b32 v20, v3, v21 :: v_dual_mov_b32 v21, v2
.LBB1_40:                               ;   in Loop: Header=BB1_4 Depth=1
	s_or_b32 exec_lo, exec_lo, s0
	s_delay_alu instid0(VALU_DEP_1) | instskip(SKIP_2) | instid1(VALU_DEP_2)
	v_add_nc_u64_e32 v[20:21], 1, v[20:21]
	v_mov_b32_e32 v35, 0
	s_mov_b32 s31, exec_lo
	v_min_i64 v[20:21], v[20:21], s[48:49]
	s_delay_alu instid0(VALU_DEP_1)
	v_cmpx_lt_i64_e64 v[18:19], v[20:21]
	s_cbranch_execz .LBB1_3
; %bb.41:                               ;   in Loop: Header=BB1_4 Depth=1
	v_mul_u64_e32 v[24:25], s[42:43], v[10:11]
	v_lshlrev_b64_e32 v[26:27], 2, v[10:11]
	v_add_nc_u64_e32 v[22:23], 1, v[22:23]
	v_mul_u64_e32 v[14:15], s[16:17], v[14:15]
	v_add_nc_u64_e32 v[28:29], s[38:39], v[0:1]
	v_mov_b32_e32 v35, 0
	s_mov_b32 s64, 0
	v_mad_nc_u64_u32 v[26:27], s8, v4, v[26:27]
	v_min_i64 v[22:23], v[22:23], s[50:51]
	s_delay_alu instid0(VALU_DEP_2) | instskip(NEXT) | instid1(VALU_DEP_1)
	v_mad_u32 v3, s9, v4, v27
	v_mad_u32 v27, s8, v5, v3
	v_sub_nc_u64_e32 v[24:25], v[28:29], v[24:25]
	s_delay_alu instid0(VALU_DEP_1) | instskip(SKIP_1) | instid1(VALU_DEP_4)
	v_sub_nc_u64_e32 v[24:25], v[24:25], v[16:17]
	v_cmp_lt_i64_e64 s0, v[10:11], v[22:23]
	v_add_nc_u64_e32 v[16:17], s[6:7], v[26:27]
	s_delay_alu instid0(VALU_DEP_3)
	v_sub_nc_u64_e32 v[8:9], v[24:25], v[8:9]
	s_branch .LBB1_44
.LBB1_42:                               ;   in Loop: Header=BB1_44 Depth=2
	s_or_b32 exec_lo, exec_lo, s66
.LBB1_43:                               ;   in Loop: Header=BB1_44 Depth=2
	s_delay_alu instid0(SALU_CYCLE_1) | instskip(SKIP_1) | instid1(VALU_DEP_1)
	s_or_b32 exec_lo, exec_lo, s65
	v_add_nc_u64_e32 v[18:19], 1, v[18:19]
	v_cmp_ge_i64_e32 vcc_lo, v[18:19], v[20:21]
	s_or_b32 s64, vcc_lo, s64
	s_delay_alu instid0(SALU_CYCLE_1)
	s_and_not1_b32 exec_lo, exec_lo, s64
	s_cbranch_execz .LBB1_2
.LBB1_44:                               ;   Parent Loop BB1_4 Depth=1
                                        ; =>  This Loop Header: Depth=2
                                        ;       Child Loop BB1_52 Depth 3
	s_delay_alu instid0(VALU_DEP_3)
	s_and_saveexec_b32 s65, s0
	s_cbranch_execz .LBB1_43
; %bb.45:                               ;   in Loop: Header=BB1_44 Depth=2
	v_mul_u64_e32 v[24:25], s[40:41], v[18:19]
	s_mov_b32 s1, exec_lo
	s_delay_alu instid0(VALU_DEP_1) | instskip(NEXT) | instid1(VALU_DEP_1)
	v_sub_nc_u64_e32 v[26:27], v[12:13], v[24:25]
                                        ; implicit-def: $vgpr24_vgpr25
	v_or_b32_e32 v3, s45, v27
	s_delay_alu instid0(VALU_DEP_1)
	v_cmpx_ne_u64_e32 0, v[2:3]
	s_xor_b32 s66, exec_lo, s1
	s_cbranch_execz .LBB1_47
; %bb.46:                               ;   in Loop: Header=BB1_44 Depth=2
	s_ashr_i32 s60, s45, 31
	v_dual_mov_b32 v31, v2 :: v_dual_ashrrev_i32 v24, 31, v27
	s_mov_b32 s61, s60
	v_mov_b32_e32 v37, v2
	s_add_nc_u64 s[62:63], s[44:45], s[60:61]
	s_delay_alu instid0(VALU_DEP_2)
	v_mov_b32_e32 v25, v24
	s_xor_b64 s[62:63], s[62:63], s[60:61]
	v_mov_b32_e32 v41, v2
	s_cvt_f32_u32 s1, s62
	s_cvt_f32_u32 s2, s63
	s_sub_nc_u64 s[70:71], 0, s[62:63]
	v_add_nc_u64_e32 v[28:29], v[26:27], v[24:25]
	s_delay_alu instid0(SALU_CYCLE_1) | instskip(NEXT) | instid1(SALU_CYCLE_3)
	s_fmamk_f32 s1, s2, 0x4f800000, s1
	v_s_rcp_f32 s1, s1
	s_delay_alu instid0(VALU_DEP_1) | instskip(NEXT) | instid1(VALU_DEP_2)
	v_xor_b32_e32 v30, v28, v24
	v_xor_b32_e32 v36, v29, v24
	;; [unrolled: 1-line block ×3, first 2 shown]
	s_delay_alu instid0(TRANS32_DEP_1) | instskip(NEXT) | instid1(SALU_CYCLE_3)
	s_mul_f32 s1, s1, 0x5f7ffffc
	s_mul_f32 s2, s1, 0x2f800000
	s_delay_alu instid0(SALU_CYCLE_3) | instskip(NEXT) | instid1(SALU_CYCLE_3)
	s_trunc_f32 s2, s2
	s_fmamk_f32 s1, s2, 0xcf800000, s1
	s_cvt_u32_f32 s69, s2
	s_delay_alu instid0(SALU_CYCLE_2) | instskip(NEXT) | instid1(SALU_CYCLE_3)
	s_cvt_u32_f32 s68, s1
	s_mul_u64 s[72:73], s[70:71], s[68:69]
	s_delay_alu instid0(SALU_CYCLE_1)
	s_mul_hi_u32 s75, s68, s73
	s_mul_i32 s74, s68, s73
	s_mul_hi_u32 s2, s68, s72
	s_mul_i32 s61, s69, s72
	s_add_nc_u64 s[74:75], s[2:3], s[74:75]
	s_mul_hi_u32 s1, s69, s72
	s_mul_hi_u32 s67, s69, s73
	s_add_co_u32 s2, s74, s61
	s_add_co_ci_u32 s2, s75, s1
	s_mul_i32 s72, s69, s73
	s_add_co_ci_u32 s73, s67, 0
	s_delay_alu instid0(SALU_CYCLE_1) | instskip(NEXT) | instid1(SALU_CYCLE_1)
	s_add_nc_u64 s[72:73], s[2:3], s[72:73]
	s_add_co_u32 s68, s68, s72
	s_cselect_b32 s1, -1, 0
	s_delay_alu instid0(SALU_CYCLE_1) | instskip(SKIP_1) | instid1(SALU_CYCLE_1)
	s_cmp_lg_u32 s1, 0
	s_add_co_ci_u32 s69, s69, s73
	s_mul_u64 s[70:71], s[70:71], s[68:69]
	s_delay_alu instid0(SALU_CYCLE_1)
	s_mul_hi_u32 s73, s68, s71
	s_mul_i32 s72, s68, s71
	s_mul_hi_u32 s2, s68, s70
	s_mul_i32 s61, s69, s70
	s_add_nc_u64 s[72:73], s[2:3], s[72:73]
	s_mul_hi_u32 s1, s69, s70
	s_mul_hi_u32 s67, s69, s71
	s_add_co_u32 s2, s72, s61
	s_add_co_ci_u32 s2, s73, s1
	s_mul_i32 s70, s69, s71
	s_add_co_ci_u32 s71, s67, 0
	s_delay_alu instid0(SALU_CYCLE_1) | instskip(NEXT) | instid1(SALU_CYCLE_1)
	s_add_nc_u64 s[70:71], s[2:3], s[70:71]
	s_add_co_u32 s68, s68, s70
	s_cselect_b32 s1, -1, 0
	v_mul_hi_u32 v40, v30, s68
	s_cmp_lg_u32 s1, 0
	s_add_co_ci_u32 s2, s69, s71
	s_and_b64 s[70:71], s[68:69], s[28:29]
	v_mul_u64_e32 v[32:33], s[2:3], v[30:31]
	v_mul_u64_e32 v[28:29], s[70:71], v[36:37]
	;; [unrolled: 1-line block ×3, first 2 shown]
	s_delay_alu instid0(VALU_DEP_3) | instskip(NEXT) | instid1(VALU_DEP_1)
	v_add_nc_u64_e32 v[32:33], v[40:41], v[32:33]
	v_add_co_u32 v3, vcc_lo, v32, v28
	s_delay_alu instid0(VALU_DEP_2) | instskip(NEXT) | instid1(VALU_DEP_4)
	v_add_co_ci_u32_e32 v40, vcc_lo, v33, v29, vcc_lo
	v_add_co_ci_u32_e32 v39, vcc_lo, 0, v39, vcc_lo
	s_delay_alu instid0(VALU_DEP_1) | instskip(NEXT) | instid1(VALU_DEP_1)
	v_add_nc_u64_e32 v[28:29], v[40:41], v[38:39]
	v_mul_u64_e32 v[32:33], s[62:63], v[28:29]
	s_delay_alu instid0(VALU_DEP_1) | instskip(NEXT) | instid1(VALU_DEP_2)
	v_sub_nc_u32_e32 v3, v36, v33
	v_sub_co_u32 v25, vcc_lo, v30, v32
	s_delay_alu instid0(VALU_DEP_1) | instskip(NEXT) | instid1(VALU_DEP_3)
	v_sub_co_ci_u32_e64 v36, null, v36, v33, vcc_lo
	v_subrev_co_ci_u32_e64 v3, null, s63, v3, vcc_lo
	s_delay_alu instid0(VALU_DEP_3) | instskip(SKIP_1) | instid1(VALU_DEP_3)
	v_sub_co_u32 v30, s1, v25, s62
	v_add_nc_u64_e32 v[32:33], 1, v[28:29]
	v_subrev_co_ci_u32_e64 v3, null, 0, v3, s1
	s_delay_alu instid0(VALU_DEP_3) | instskip(SKIP_1) | instid1(VALU_DEP_3)
	v_cmp_le_u32_e32 vcc_lo, s62, v30
	v_cndmask_b32_e64 v30, 0, -1, vcc_lo
	v_cmp_le_u32_e32 vcc_lo, s63, v3
	v_cndmask_b32_e64 v31, 0, -1, vcc_lo
	;; [unrolled: 2-line block ×4, first 2 shown]
	v_cmp_eq_u32_e32 vcc_lo, s63, v3
	v_cndmask_b32_e32 v3, v31, v30, vcc_lo
	v_cmp_eq_u32_e32 vcc_lo, s63, v36
	v_add_nc_u64_e32 v[30:31], 2, v[28:29]
	v_cndmask_b32_e32 v25, v37, v25, vcc_lo
	s_delay_alu instid0(VALU_DEP_4) | instskip(NEXT) | instid1(VALU_DEP_2)
	v_cmp_ne_u32_e32 vcc_lo, 0, v3
	v_cmp_ne_u32_e64 s1, 0, v25
	s_delay_alu instid0(VALU_DEP_4) | instskip(NEXT) | instid1(VALU_DEP_1)
	v_dual_cndmask_b32 v3, v33, v31, vcc_lo :: v_dual_cndmask_b32 v25, v32, v30, vcc_lo
	v_dual_cndmask_b32 v3, v29, v3, s1 :: v_dual_cndmask_b32 v28, v28, v25, s1
	s_delay_alu instid0(VALU_DEP_1) | instskip(NEXT) | instid1(VALU_DEP_2)
	v_dual_mov_b32 v25, v24 :: v_dual_bitop2_b32 v29, v3, v24 bitop3:0x14
	v_xor_b32_e32 v28, v28, v24
	s_delay_alu instid0(VALU_DEP_1)
	v_sub_nc_u64_e32 v[24:25], v[28:29], v[24:25]
.LBB1_47:                               ;   in Loop: Header=BB1_44 Depth=2
	s_and_not1_saveexec_b32 s1, s66
	s_cbranch_execz .LBB1_49
; %bb.48:                               ;   in Loop: Header=BB1_44 Depth=2
	v_cvt_f32_u32_e32 v3, s44
	s_sub_co_i32 s2, 0, s44
	s_delay_alu instid0(VALU_DEP_1) | instskip(SKIP_1) | instid1(TRANS32_DEP_1)
	v_rcp_iflag_f32_e32 v3, v3
	v_nop
	v_mul_f32_e32 v3, 0x4f7ffffe, v3
	s_delay_alu instid0(VALU_DEP_1) | instskip(NEXT) | instid1(VALU_DEP_1)
	v_cvt_u32_f32_e32 v3, v3
	v_mul_lo_u32 v24, s2, v3
	s_delay_alu instid0(VALU_DEP_1) | instskip(NEXT) | instid1(VALU_DEP_1)
	v_mul_hi_u32 v24, v3, v24
	v_add_nc_u32_e32 v3, v3, v24
	s_delay_alu instid0(VALU_DEP_1) | instskip(NEXT) | instid1(VALU_DEP_1)
	v_mul_hi_u32 v3, v26, v3
	v_mul_lo_u32 v24, v3, s44
	s_delay_alu instid0(VALU_DEP_1) | instskip(NEXT) | instid1(VALU_DEP_1)
	v_sub_nc_u32_e32 v24, v26, v24
	v_subrev_nc_u32_e32 v28, s44, v24
	v_cmp_le_u32_e32 vcc_lo, s44, v24
	s_delay_alu instid0(VALU_DEP_2) | instskip(NEXT) | instid1(VALU_DEP_1)
	v_dual_cndmask_b32 v24, v24, v28 :: v_dual_add_nc_u32 v25, 1, v3
	v_cndmask_b32_e32 v3, v3, v25, vcc_lo
	s_delay_alu instid0(VALU_DEP_2) | instskip(NEXT) | instid1(VALU_DEP_2)
	v_cmp_le_u32_e32 vcc_lo, s44, v24
	v_add_nc_u32_e32 v25, 1, v3
	s_delay_alu instid0(VALU_DEP_1)
	v_dual_cndmask_b32 v24, v3, v25 :: v_dual_mov_b32 v25, v2
.LBB1_49:                               ;   in Loop: Header=BB1_44 Depth=2
	s_or_b32 exec_lo, exec_lo, s1
	s_delay_alu instid0(VALU_DEP_1) | instskip(SKIP_3) | instid1(VALU_DEP_2)
	v_mul_u64_e32 v[28:29], s[44:45], v[24:25]
	v_add_nc_u64_e32 v[24:25], v[24:25], v[14:15]
	v_mov_b64_e32 v[30:31], v[10:11]
	s_mov_b32 s66, 0
	v_mul_u64_e32 v[24:25], s[18:19], v[24:25]
	s_delay_alu instid0(VALU_DEP_4) | instskip(SKIP_1) | instid1(VALU_DEP_2)
	v_sub_nc_u64_e32 v[26:27], v[26:27], v[28:29]
	v_mov_b64_e32 v[28:29], v[16:17]
	v_cmp_eq_u64_e64 s1, 0, v[26:27]
	v_mov_b64_e32 v[26:27], v[8:9]
	s_branch .LBB1_52
.LBB1_50:                               ;   in Loop: Header=BB1_52 Depth=3
	s_wait_xcnt 0x0
	s_or_b32 exec_lo, exec_lo, s2
.LBB1_51:                               ;   in Loop: Header=BB1_52 Depth=3
	s_delay_alu instid0(SALU_CYCLE_1) | instskip(SKIP_3) | instid1(VALU_DEP_3)
	s_or_b32 exec_lo, exec_lo, s67
	v_add_nc_u64_e32 v[30:31], 1, v[30:31]
	v_add_nc_u64_e32 v[28:29], 4, v[28:29]
	v_sub_nc_u64_e64 v[26:27], v[26:27], s[42:43]
	v_cmp_ge_i64_e32 vcc_lo, v[30:31], v[22:23]
	s_or_b32 s66, vcc_lo, s66
	s_delay_alu instid0(SALU_CYCLE_1)
	s_and_not1_b32 exec_lo, exec_lo, s66
	s_cbranch_execz .LBB1_42
.LBB1_52:                               ;   Parent Loop BB1_4 Depth=1
                                        ;     Parent Loop BB1_44 Depth=2
                                        ; =>    This Inner Loop Header: Depth=3
	s_delay_alu instid0(VALU_DEP_2)
	s_and_saveexec_b32 s67, s1
	s_cbranch_execz .LBB1_51
; %bb.53:                               ;   in Loop: Header=BB1_52 Depth=3
	s_delay_alu instid0(VALU_DEP_1) | instskip(SKIP_1) | instid1(VALU_DEP_1)
	v_or_b32_e32 v3, s47, v27
                                        ; implicit-def: $vgpr32_vgpr33
	s_mov_b32 s2, exec_lo
	v_cmpx_ne_u64_e32 0, v[2:3]
	s_xor_b32 s68, exec_lo, s2
	s_cbranch_execz .LBB1_55
; %bb.54:                               ;   in Loop: Header=BB1_52 Depth=3
	s_ashr_i32 s60, s47, 31
	v_dual_mov_b32 v39, v2 :: v_dual_ashrrev_i32 v32, 31, v27
	s_mov_b32 s61, s60
	v_mov_b32_e32 v43, v2
	s_add_nc_u64 s[62:63], s[46:47], s[60:61]
	s_delay_alu instid0(VALU_DEP_2)
	v_mov_b32_e32 v33, v32
	s_xor_b64 s[62:63], s[62:63], s[60:61]
	v_mov_b32_e32 v47, v2
	s_cvt_f32_u32 s2, s62
	s_cvt_f32_u32 s61, s63
	s_sub_nc_u64 s[72:73], 0, s[62:63]
	v_add_nc_u64_e32 v[36:37], v[26:27], v[32:33]
	s_delay_alu instid0(SALU_CYCLE_1) | instskip(NEXT) | instid1(SALU_CYCLE_3)
	s_fmamk_f32 s2, s61, 0x4f800000, s2
	v_s_rcp_f32 s2, s2
	s_delay_alu instid0(VALU_DEP_1) | instskip(NEXT) | instid1(VALU_DEP_2)
	v_xor_b32_e32 v38, v36, v32
	v_xor_b32_e32 v42, v37, v32
	s_delay_alu instid0(TRANS32_DEP_1) | instskip(NEXT) | instid1(SALU_CYCLE_3)
	s_mul_f32 s2, s2, 0x5f7ffffc
	s_mul_f32 s61, s2, 0x2f800000
	s_delay_alu instid0(SALU_CYCLE_3) | instskip(NEXT) | instid1(SALU_CYCLE_3)
	s_trunc_f32 s61, s61
	s_fmamk_f32 s2, s61, 0xcf800000, s2
	s_cvt_u32_f32 s71, s61
	s_delay_alu instid0(SALU_CYCLE_2) | instskip(NEXT) | instid1(SALU_CYCLE_3)
	s_cvt_u32_f32 s70, s2
	s_mul_u64 s[74:75], s[72:73], s[70:71]
	s_delay_alu instid0(SALU_CYCLE_1)
	s_mul_hi_u32 s77, s70, s75
	s_mul_i32 s76, s70, s75
	s_mul_hi_u32 s2, s70, s74
	s_mul_i32 s69, s71, s74
	s_add_nc_u64 s[76:77], s[2:3], s[76:77]
	s_mul_hi_u32 s61, s71, s74
	s_mul_hi_u32 s78, s71, s75
	s_add_co_u32 s2, s76, s69
	s_add_co_ci_u32 s2, s77, s61
	s_mul_i32 s74, s71, s75
	s_add_co_ci_u32 s75, s78, 0
	s_delay_alu instid0(SALU_CYCLE_1) | instskip(NEXT) | instid1(SALU_CYCLE_1)
	s_add_nc_u64 s[74:75], s[2:3], s[74:75]
	s_add_co_u32 s70, s70, s74
	s_cselect_b32 s2, -1, 0
	s_delay_alu instid0(SALU_CYCLE_1) | instskip(SKIP_1) | instid1(SALU_CYCLE_1)
	s_cmp_lg_u32 s2, 0
	s_add_co_ci_u32 s71, s71, s75
	s_mul_u64 s[72:73], s[72:73], s[70:71]
	s_delay_alu instid0(SALU_CYCLE_1)
	s_mul_hi_u32 s75, s70, s73
	s_mul_i32 s74, s70, s73
	s_mul_hi_u32 s2, s70, s72
	s_mul_i32 s69, s71, s72
	s_add_nc_u64 s[74:75], s[2:3], s[74:75]
	s_mul_hi_u32 s61, s71, s72
	s_mul_hi_u32 s76, s71, s73
	s_add_co_u32 s2, s74, s69
	s_add_co_ci_u32 s2, s75, s61
	s_mul_i32 s72, s71, s73
	s_add_co_ci_u32 s73, s76, 0
	s_delay_alu instid0(SALU_CYCLE_1) | instskip(NEXT) | instid1(SALU_CYCLE_1)
	s_add_nc_u64 s[72:73], s[2:3], s[72:73]
	s_add_co_u32 s70, s70, s72
	s_cselect_b32 s2, -1, 0
	v_mul_hi_u32 v46, v38, s70
	s_cmp_lg_u32 s2, 0
	s_add_co_ci_u32 s2, s71, s73
	s_and_b64 s[72:73], s[70:71], s[28:29]
	v_mul_u64_e32 v[40:41], s[2:3], v[38:39]
	v_mul_u64_e32 v[36:37], s[72:73], v[42:43]
	;; [unrolled: 1-line block ×3, first 2 shown]
	s_delay_alu instid0(VALU_DEP_3) | instskip(NEXT) | instid1(VALU_DEP_1)
	v_add_nc_u64_e32 v[40:41], v[46:47], v[40:41]
	v_add_co_u32 v3, vcc_lo, v40, v36
	s_delay_alu instid0(VALU_DEP_2) | instskip(NEXT) | instid1(VALU_DEP_4)
	v_add_co_ci_u32_e32 v46, vcc_lo, v41, v37, vcc_lo
	v_add_co_ci_u32_e32 v45, vcc_lo, 0, v45, vcc_lo
	s_delay_alu instid0(VALU_DEP_1) | instskip(NEXT) | instid1(VALU_DEP_1)
	v_add_nc_u64_e32 v[36:37], v[46:47], v[44:45]
	v_mul_u64_e32 v[40:41], s[62:63], v[36:37]
	s_delay_alu instid0(VALU_DEP_1) | instskip(NEXT) | instid1(VALU_DEP_2)
	v_sub_nc_u32_e32 v3, v42, v41
	v_sub_co_u32 v33, vcc_lo, v38, v40
	s_delay_alu instid0(VALU_DEP_1) | instskip(NEXT) | instid1(VALU_DEP_3)
	v_sub_co_ci_u32_e64 v42, null, v42, v41, vcc_lo
	v_subrev_co_ci_u32_e64 v3, null, s63, v3, vcc_lo
	s_delay_alu instid0(VALU_DEP_3) | instskip(SKIP_1) | instid1(VALU_DEP_3)
	v_sub_co_u32 v38, s2, v33, s62
	v_add_nc_u64_e32 v[40:41], 1, v[36:37]
	v_subrev_co_ci_u32_e64 v3, null, 0, v3, s2
	s_delay_alu instid0(VALU_DEP_3) | instskip(SKIP_1) | instid1(VALU_DEP_3)
	v_cmp_le_u32_e32 vcc_lo, s62, v38
	v_cndmask_b32_e64 v38, 0, -1, vcc_lo
	v_cmp_le_u32_e32 vcc_lo, s63, v3
	v_cndmask_b32_e64 v39, 0, -1, vcc_lo
	;; [unrolled: 2-line block ×4, first 2 shown]
	v_cmp_eq_u32_e32 vcc_lo, s63, v3
	v_cndmask_b32_e32 v3, v39, v38, vcc_lo
	v_cmp_eq_u32_e32 vcc_lo, s63, v42
	v_add_nc_u64_e32 v[38:39], 2, v[36:37]
	v_cndmask_b32_e32 v33, v43, v33, vcc_lo
	s_delay_alu instid0(VALU_DEP_4) | instskip(NEXT) | instid1(VALU_DEP_3)
	v_cmp_ne_u32_e32 vcc_lo, 0, v3
	v_cndmask_b32_e32 v3, v41, v39, vcc_lo
	s_delay_alu instid0(VALU_DEP_3) | instskip(SKIP_1) | instid1(VALU_DEP_1)
	v_cmp_ne_u32_e64 s2, 0, v33
	v_dual_cndmask_b32 v33, v40, v38, vcc_lo :: v_dual_bitop2_b32 v32, s60, v32 bitop3:0x14
	v_dual_cndmask_b32 v3, v37, v3, s2 :: v_dual_cndmask_b32 v36, v36, v33, s2
	s_delay_alu instid0(VALU_DEP_1) | instskip(NEXT) | instid1(VALU_DEP_2)
	v_dual_mov_b32 v33, v32 :: v_dual_bitop2_b32 v37, v3, v32 bitop3:0x14
	v_xor_b32_e32 v36, v36, v32
	s_delay_alu instid0(VALU_DEP_1)
	v_sub_nc_u64_e32 v[32:33], v[36:37], v[32:33]
.LBB1_55:                               ;   in Loop: Header=BB1_52 Depth=3
	s_and_not1_saveexec_b32 s2, s68
	s_cbranch_execz .LBB1_57
; %bb.56:                               ;   in Loop: Header=BB1_52 Depth=3
	v_cvt_f32_u32_e32 v3, s46
	s_sub_co_i32 s60, 0, s46
	s_delay_alu instid0(VALU_DEP_1) | instskip(SKIP_1) | instid1(TRANS32_DEP_1)
	v_rcp_iflag_f32_e32 v3, v3
	v_nop
	v_mul_f32_e32 v3, 0x4f7ffffe, v3
	s_delay_alu instid0(VALU_DEP_1) | instskip(NEXT) | instid1(VALU_DEP_1)
	v_cvt_u32_f32_e32 v3, v3
	v_mul_lo_u32 v32, s60, v3
	s_delay_alu instid0(VALU_DEP_1) | instskip(NEXT) | instid1(VALU_DEP_1)
	v_mul_hi_u32 v32, v3, v32
	v_add_nc_u32_e32 v3, v3, v32
	s_delay_alu instid0(VALU_DEP_1) | instskip(NEXT) | instid1(VALU_DEP_1)
	v_mul_hi_u32 v3, v26, v3
	v_mul_lo_u32 v32, v3, s46
	s_delay_alu instid0(VALU_DEP_1) | instskip(NEXT) | instid1(VALU_DEP_1)
	v_sub_nc_u32_e32 v32, v26, v32
	v_subrev_nc_u32_e32 v36, s46, v32
	v_cmp_le_u32_e32 vcc_lo, s46, v32
	s_delay_alu instid0(VALU_DEP_2) | instskip(NEXT) | instid1(VALU_DEP_1)
	v_dual_cndmask_b32 v32, v32, v36 :: v_dual_add_nc_u32 v33, 1, v3
	v_cndmask_b32_e32 v3, v3, v33, vcc_lo
	s_delay_alu instid0(VALU_DEP_2) | instskip(NEXT) | instid1(VALU_DEP_2)
	v_cmp_le_u32_e32 vcc_lo, s46, v32
	v_add_nc_u32_e32 v33, 1, v3
	s_delay_alu instid0(VALU_DEP_1)
	v_dual_cndmask_b32 v32, v3, v33 :: v_dual_mov_b32 v33, v2
.LBB1_57:                               ;   in Loop: Header=BB1_52 Depth=3
	s_or_b32 exec_lo, exec_lo, s2
	s_delay_alu instid0(VALU_DEP_1) | instskip(SKIP_1) | instid1(VALU_DEP_1)
	v_mul_u64_e32 v[36:37], s[46:47], v[32:33]
	s_mov_b32 s2, exec_lo
	v_sub_nc_u64_e32 v[36:37], v[26:27], v[36:37]
	s_delay_alu instid0(VALU_DEP_1)
	v_cmpx_eq_u64_e32 0, v[36:37]
	s_cbranch_execz .LBB1_50
; %bb.58:                               ;   in Loop: Header=BB1_52 Depth=3
	v_add_nc_u64_e32 v[32:33], v[24:25], v[32:33]
	s_delay_alu instid0(VALU_DEP_1) | instskip(NEXT) | instid1(VALU_DEP_1)
	v_mad_nc_u64_u32 v[36:37], v32, s48, v[18:19]
	v_mad_u32 v3, v33, s48, v37
	s_delay_alu instid0(VALU_DEP_2) | instskip(NEXT) | instid1(VALU_DEP_2)
	v_mad_nc_u64_u32 v[38:39], s54, v36, v[28:29]
	v_mad_u32 v3, v32, s49, v3
	s_delay_alu instid0(VALU_DEP_2) | instskip(NEXT) | instid1(VALU_DEP_1)
	v_mad_u32 v32, s55, v36, v39
	v_mad_u32 v39, s54, v3, v32
	global_load_b32 v3, v[38:39], off
	s_wait_loadcnt 0x0
	v_add_f32_e32 v35, v35, v3
	s_branch .LBB1_50
.LBB1_59:
	s_endpgm
	.section	.rodata,"a",@progbits
	.p2align	6, 0x0
	.amdhsa_kernel _ZN2at6native21col2im_batched_kernelIfEEvlPKT_llllllllllllllPS2_l
		.amdhsa_group_segment_fixed_size 0
		.amdhsa_private_segment_fixed_size 0
		.amdhsa_kernarg_size 400
		.amdhsa_user_sgpr_count 2
		.amdhsa_user_sgpr_dispatch_ptr 0
		.amdhsa_user_sgpr_queue_ptr 0
		.amdhsa_user_sgpr_kernarg_segment_ptr 1
		.amdhsa_user_sgpr_dispatch_id 0
		.amdhsa_user_sgpr_kernarg_preload_length 0
		.amdhsa_user_sgpr_kernarg_preload_offset 0
		.amdhsa_user_sgpr_private_segment_size 0
		.amdhsa_wavefront_size32 1
		.amdhsa_uses_dynamic_stack 0
		.amdhsa_enable_private_segment 0
		.amdhsa_system_sgpr_workgroup_id_x 1
		.amdhsa_system_sgpr_workgroup_id_y 0
		.amdhsa_system_sgpr_workgroup_id_z 0
		.amdhsa_system_sgpr_workgroup_info 0
		.amdhsa_system_vgpr_workitem_id 0
		.amdhsa_next_free_vgpr 48
		.amdhsa_next_free_sgpr 79
		.amdhsa_named_barrier_count 0
		.amdhsa_reserve_vcc 1
		.amdhsa_float_round_mode_32 0
		.amdhsa_float_round_mode_16_64 0
		.amdhsa_float_denorm_mode_32 3
		.amdhsa_float_denorm_mode_16_64 3
		.amdhsa_fp16_overflow 0
		.amdhsa_memory_ordered 1
		.amdhsa_forward_progress 1
		.amdhsa_inst_pref_size 65
		.amdhsa_round_robin_scheduling 0
		.amdhsa_exception_fp_ieee_invalid_op 0
		.amdhsa_exception_fp_denorm_src 0
		.amdhsa_exception_fp_ieee_div_zero 0
		.amdhsa_exception_fp_ieee_overflow 0
		.amdhsa_exception_fp_ieee_underflow 0
		.amdhsa_exception_fp_ieee_inexact 0
		.amdhsa_exception_int_div_zero 0
	.end_amdhsa_kernel
	.section	.text._ZN2at6native21col2im_batched_kernelIfEEvlPKT_llllllllllllllPS2_l,"axG",@progbits,_ZN2at6native21col2im_batched_kernelIfEEvlPKT_llllllllllllllPS2_l,comdat
.Lfunc_end1:
	.size	_ZN2at6native21col2im_batched_kernelIfEEvlPKT_llllllllllllllPS2_l, .Lfunc_end1-_ZN2at6native21col2im_batched_kernelIfEEvlPKT_llllllllllllllPS2_l
                                        ; -- End function
	.set _ZN2at6native21col2im_batched_kernelIfEEvlPKT_llllllllllllllPS2_l.num_vgpr, 48
	.set _ZN2at6native21col2im_batched_kernelIfEEvlPKT_llllllllllllllPS2_l.num_agpr, 0
	.set _ZN2at6native21col2im_batched_kernelIfEEvlPKT_llllllllllllllPS2_l.numbered_sgpr, 79
	.set _ZN2at6native21col2im_batched_kernelIfEEvlPKT_llllllllllllllPS2_l.num_named_barrier, 0
	.set _ZN2at6native21col2im_batched_kernelIfEEvlPKT_llllllllllllllPS2_l.private_seg_size, 0
	.set _ZN2at6native21col2im_batched_kernelIfEEvlPKT_llllllllllllllPS2_l.uses_vcc, 1
	.set _ZN2at6native21col2im_batched_kernelIfEEvlPKT_llllllllllllllPS2_l.uses_flat_scratch, 0
	.set _ZN2at6native21col2im_batched_kernelIfEEvlPKT_llllllllllllllPS2_l.has_dyn_sized_stack, 0
	.set _ZN2at6native21col2im_batched_kernelIfEEvlPKT_llllllllllllllPS2_l.has_recursion, 0
	.set _ZN2at6native21col2im_batched_kernelIfEEvlPKT_llllllllllllllPS2_l.has_indirect_call, 0
	.section	.AMDGPU.csdata,"",@progbits
; Kernel info:
; codeLenInByte = 8196
; TotalNumSgprs: 81
; NumVgprs: 48
; ScratchSize: 0
; MemoryBound: 0
; FloatMode: 240
; IeeeMode: 1
; LDSByteSize: 0 bytes/workgroup (compile time only)
; SGPRBlocks: 0
; VGPRBlocks: 2
; NumSGPRsForWavesPerEU: 81
; NumVGPRsForWavesPerEU: 48
; NamedBarCnt: 0
; Occupancy: 16
; WaveLimiterHint : 0
; COMPUTE_PGM_RSRC2:SCRATCH_EN: 0
; COMPUTE_PGM_RSRC2:USER_SGPR: 2
; COMPUTE_PGM_RSRC2:TRAP_HANDLER: 0
; COMPUTE_PGM_RSRC2:TGID_X_EN: 1
; COMPUTE_PGM_RSRC2:TGID_Y_EN: 0
; COMPUTE_PGM_RSRC2:TGID_Z_EN: 0
; COMPUTE_PGM_RSRC2:TIDIG_COMP_CNT: 0
	.section	.text._ZN2at6native21col2im_batched_kernelIN3c107complexIdEEEEvlPKT_llllllllllllllPS5_l,"axG",@progbits,_ZN2at6native21col2im_batched_kernelIN3c107complexIdEEEEvlPKT_llllllllllllllPS5_l,comdat
	.protected	_ZN2at6native21col2im_batched_kernelIN3c107complexIdEEEEvlPKT_llllllllllllllPS5_l ; -- Begin function _ZN2at6native21col2im_batched_kernelIN3c107complexIdEEEEvlPKT_llllllllllllllPS5_l
	.globl	_ZN2at6native21col2im_batched_kernelIN3c107complexIdEEEEvlPKT_llllllllllllllPS5_l
	.p2align	8
	.type	_ZN2at6native21col2im_batched_kernelIN3c107complexIdEEEEvlPKT_llllllllllllllPS5_l,@function
_ZN2at6native21col2im_batched_kernelIN3c107complexIdEEEEvlPKT_llllllllllllllPS5_l: ; @_ZN2at6native21col2im_batched_kernelIN3c107complexIdEEEEvlPKT_llllllllllllllPS5_l
; %bb.0:
	s_load_b32 s2, s[0:1], 0x9c
	s_bfe_u32 s20, ttmp6, 0x4000c
	s_load_b512 s[4:19], s[0:1], 0x0
	v_mov_b32_e32 v4, 0
	s_add_co_i32 s20, s20, 1
	s_and_b32 s3, ttmp6, 15
	s_mul_i32 s20, ttmp9, s20
	s_getreg_b32 s21, hwreg(HW_REG_IB_STS2, 6, 4)
	v_mov_b32_e32 v1, v4
	s_add_co_i32 s3, s3, s20
	s_mov_b32 s20, exec_lo
	s_wait_kmcnt 0x0
	s_and_b32 s2, s2, 0xffff
	s_cmp_eq_u32 s21, 0
	s_mul_u64 s[10:11], s[10:11], s[4:5]
	s_cselect_b32 s3, ttmp9, s3
	s_delay_alu instid0(SALU_CYCLE_1) | instskip(SKIP_1) | instid1(VALU_DEP_1)
	v_mad_nc_u64_u32 v[6:7], s2, s3, v[0:1]
	s_mov_b32 s3, 0
	v_cmpx_gt_i64_e64 s[10:11], v[6:7]
	s_cbranch_execz .LBB2_59
; %bb.1:
	s_load_b512 s[36:51], s[0:1], 0x40
	s_add_nc_u64 s[20:21], s[0:1], 0x90
	v_cvt_f32_u32_e32 v0, s4
	s_load_b32 s26, s[20:21], 0x0
	s_add_nc_u64 s[52:53], s[16:17], -1
	s_wait_xcnt 0x0
	s_load_b128 s[20:23], s[0:1], 0x80
	s_wait_xcnt 0x0
	s_add_nc_u64 s[0:1], s[18:19], -1
	v_rcp_iflag_f32_e32 v0, v0
	s_mul_u64 s[24:25], s[14:15], s[12:13]
	s_mov_b32 s27, s3
	s_lshl_b64 s[8:9], s[8:9], 4
	s_mov_b64 s[28:29], 0xffffffff
	s_ashr_i32 s30, s5, 31
	s_mov_b32 s33, 0
	v_nop
	v_mul_f32_e32 v0, 0x4f7ffffe, v0
	s_delay_alu instid0(VALU_DEP_1)
	v_cvt_u32_f32_e32 v38, v0
	s_wait_kmcnt 0x0
	s_mul_u64 s[34:35], s[46:47], s[0:1]
	s_mul_u64 s[52:53], s[44:45], s[52:53]
	s_lshl_b64 s[54:55], s[50:51], 4
	s_not_b64 s[56:57], s[52:53]
	s_not_b64 s[58:59], s[34:35]
	s_mul_i32 s26, s26, s2
	s_branch .LBB2_4
.LBB2_2:                                ;   in Loop: Header=BB2_4 Depth=1
	s_or_b32 exec_lo, exec_lo, s64
.LBB2_3:                                ;   in Loop: Header=BB2_4 Depth=1
	s_delay_alu instid0(SALU_CYCLE_1) | instskip(SKIP_2) | instid1(VALU_DEP_1)
	s_or_b32 exec_lo, exec_lo, s31
	v_mul_u64_e32 v[8:9], s[22:23], v[8:9]
	v_add_nc_u64_e32 v[6:7], s[26:27], v[6:7]
	v_cmp_le_i64_e32 vcc_lo, s[10:11], v[6:7]
	s_or_b32 s33, vcc_lo, s33
	s_delay_alu instid0(VALU_DEP_3) | instskip(NEXT) | instid1(VALU_DEP_1)
	v_lshl_add_u64 v[8:9], v[8:9], 4, s[20:21]
	v_lshl_add_u64 v[8:9], v[10:11], 4, v[8:9]
	global_store_b128 v[8:9], v[0:3], off
	s_wait_xcnt 0x0
	s_and_not1_b32 exec_lo, exec_lo, s33
	s_cbranch_execz .LBB2_59
.LBB2_4:                                ; =>This Loop Header: Depth=1
                                        ;     Child Loop BB2_44 Depth 2
                                        ;       Child Loop BB2_52 Depth 3
	v_or_b32_e32 v5, s5, v7
                                        ; implicit-def: $vgpr8_vgpr9
	s_mov_b32 s0, exec_lo
	s_delay_alu instid0(VALU_DEP_1)
	v_cmpx_ne_u64_e32 0, v[4:5]
	s_xor_b32 s1, exec_lo, s0
	s_cbranch_execz .LBB2_6
; %bb.5:                                ;   in Loop: Header=BB2_4 Depth=1
	s_mov_b32 s31, s30
	v_dual_mov_b32 v9, v4 :: v_dual_ashrrev_i32 v0, 31, v7
	s_add_nc_u64 s[60:61], s[4:5], s[30:31]
	v_mov_b32_e32 v17, v4
	s_xor_b64 s[60:61], s[60:61], s[30:31]
	s_delay_alu instid0(VALU_DEP_2) | instskip(SKIP_3) | instid1(VALU_DEP_1)
	v_mov_b32_e32 v1, v0
	s_cvt_f32_u32 s0, s60
	s_cvt_f32_u32 s2, s61
	s_sub_nc_u64 s[64:65], 0, s[60:61]
	v_add_nc_u64_e32 v[2:3], v[6:7], v[0:1]
	s_delay_alu instid0(SALU_CYCLE_1) | instskip(SKIP_1) | instid1(SALU_CYCLE_2)
	s_fmamk_f32 s0, s2, 0x4f800000, s0
	v_mov_b32_e32 v13, v4
	v_s_rcp_f32 s0, s0
	s_delay_alu instid0(VALU_DEP_2) | instskip(NEXT) | instid1(VALU_DEP_3)
	v_xor_b32_e32 v8, v2, v0
	v_xor_b32_e32 v12, v3, v0
	s_delay_alu instid0(TRANS32_DEP_1) | instskip(NEXT) | instid1(SALU_CYCLE_3)
	s_mul_f32 s0, s0, 0x5f7ffffc
	s_mul_f32 s2, s0, 0x2f800000
	s_delay_alu instid0(SALU_CYCLE_3) | instskip(NEXT) | instid1(SALU_CYCLE_3)
	s_trunc_f32 s2, s2
	s_fmamk_f32 s0, s2, 0xcf800000, s0
	s_cvt_u32_f32 s63, s2
	s_delay_alu instid0(SALU_CYCLE_2) | instskip(NEXT) | instid1(SALU_CYCLE_3)
	s_cvt_u32_f32 s62, s0
	s_mul_u64 s[66:67], s[64:65], s[62:63]
	s_delay_alu instid0(SALU_CYCLE_1)
	s_mul_hi_u32 s69, s62, s67
	s_mul_i32 s68, s62, s67
	s_mul_hi_u32 s2, s62, s66
	s_mul_i32 s31, s63, s66
	s_add_nc_u64 s[68:69], s[2:3], s[68:69]
	s_mul_hi_u32 s0, s63, s66
	s_mul_hi_u32 s70, s63, s67
	s_add_co_u32 s2, s68, s31
	s_add_co_ci_u32 s2, s69, s0
	s_mul_i32 s66, s63, s67
	s_add_co_ci_u32 s67, s70, 0
	s_delay_alu instid0(SALU_CYCLE_1) | instskip(NEXT) | instid1(SALU_CYCLE_1)
	s_add_nc_u64 s[66:67], s[2:3], s[66:67]
	s_add_co_u32 s62, s62, s66
	s_cselect_b32 s0, -1, 0
	s_delay_alu instid0(SALU_CYCLE_1) | instskip(SKIP_1) | instid1(SALU_CYCLE_1)
	s_cmp_lg_u32 s0, 0
	s_add_co_ci_u32 s63, s63, s67
	s_mul_u64 s[64:65], s[64:65], s[62:63]
	s_delay_alu instid0(SALU_CYCLE_1)
	s_mul_hi_u32 s67, s62, s65
	s_mul_i32 s66, s62, s65
	s_mul_hi_u32 s2, s62, s64
	s_mul_i32 s31, s63, s64
	s_add_nc_u64 s[66:67], s[2:3], s[66:67]
	s_mul_hi_u32 s0, s63, s64
	s_mul_hi_u32 s68, s63, s65
	s_add_co_u32 s2, s66, s31
	s_add_co_ci_u32 s2, s67, s0
	s_mul_i32 s64, s63, s65
	s_add_co_ci_u32 s65, s68, 0
	s_delay_alu instid0(SALU_CYCLE_1) | instskip(NEXT) | instid1(SALU_CYCLE_1)
	s_add_nc_u64 s[64:65], s[2:3], s[64:65]
	s_add_co_u32 s0, s62, s64
	s_cselect_b32 s2, -1, 0
	v_mul_hi_u32 v16, v8, s0
	s_cmp_lg_u32 s2, 0
	s_add_co_ci_u32 s2, s63, s65
	s_and_b64 s[62:63], s[0:1], s[28:29]
	v_mul_u64_e32 v[10:11], s[2:3], v[8:9]
	v_mul_u64_e32 v[2:3], s[62:63], v[12:13]
	;; [unrolled: 1-line block ×3, first 2 shown]
	s_delay_alu instid0(VALU_DEP_3) | instskip(NEXT) | instid1(VALU_DEP_1)
	v_add_nc_u64_e32 v[10:11], v[16:17], v[10:11]
	v_add_co_u32 v1, vcc_lo, v10, v2
	s_delay_alu instid0(VALU_DEP_2) | instskip(NEXT) | instid1(VALU_DEP_4)
	v_add_co_ci_u32_e32 v16, vcc_lo, v11, v3, vcc_lo
	v_add_co_ci_u32_e32 v15, vcc_lo, 0, v15, vcc_lo
	s_delay_alu instid0(VALU_DEP_1) | instskip(NEXT) | instid1(VALU_DEP_1)
	v_add_nc_u64_e32 v[2:3], v[16:17], v[14:15]
	v_mul_u64_e32 v[10:11], s[60:61], v[2:3]
	s_delay_alu instid0(VALU_DEP_1) | instskip(NEXT) | instid1(VALU_DEP_2)
	v_sub_nc_u32_e32 v1, v12, v11
	v_sub_co_u32 v5, vcc_lo, v8, v10
	s_delay_alu instid0(VALU_DEP_1) | instskip(NEXT) | instid1(VALU_DEP_3)
	v_sub_co_ci_u32_e64 v12, null, v12, v11, vcc_lo
	v_subrev_co_ci_u32_e64 v1, null, s61, v1, vcc_lo
	s_delay_alu instid0(VALU_DEP_3) | instskip(SKIP_1) | instid1(VALU_DEP_3)
	v_sub_co_u32 v8, s0, v5, s60
	v_add_nc_u64_e32 v[10:11], 1, v[2:3]
	v_subrev_co_ci_u32_e64 v1, null, 0, v1, s0
	s_delay_alu instid0(VALU_DEP_3) | instskip(SKIP_1) | instid1(VALU_DEP_3)
	v_cmp_le_u32_e32 vcc_lo, s60, v8
	v_cndmask_b32_e64 v8, 0, -1, vcc_lo
	v_cmp_le_u32_e32 vcc_lo, s61, v1
	v_cndmask_b32_e64 v9, 0, -1, vcc_lo
	;; [unrolled: 2-line block ×4, first 2 shown]
	v_cmp_eq_u32_e32 vcc_lo, s61, v1
	v_cndmask_b32_e32 v1, v9, v8, vcc_lo
	v_cmp_eq_u32_e32 vcc_lo, s61, v12
	v_add_nc_u64_e32 v[8:9], 2, v[2:3]
	v_cndmask_b32_e32 v5, v13, v5, vcc_lo
	s_delay_alu instid0(VALU_DEP_4) | instskip(NEXT) | instid1(VALU_DEP_2)
	v_cmp_ne_u32_e32 vcc_lo, 0, v1
	v_cmp_ne_u32_e64 s0, 0, v5
	s_delay_alu instid0(VALU_DEP_4) | instskip(NEXT) | instid1(VALU_DEP_1)
	v_dual_cndmask_b32 v1, v11, v9, vcc_lo :: v_dual_cndmask_b32 v5, v10, v8, vcc_lo
	v_dual_cndmask_b32 v3, v3, v1, s0 :: v_dual_bitop2_b32 v0, s30, v0 bitop3:0x14
	s_delay_alu instid0(VALU_DEP_1) | instskip(NEXT) | instid1(VALU_DEP_2)
	v_dual_cndmask_b32 v2, v2, v5, s0 :: v_dual_mov_b32 v1, v0
	v_xor_b32_e32 v3, v3, v0
	s_delay_alu instid0(VALU_DEP_2) | instskip(NEXT) | instid1(VALU_DEP_1)
	v_xor_b32_e32 v2, v2, v0
	v_sub_nc_u64_e32 v[8:9], v[2:3], v[0:1]
.LBB2_6:                                ;   in Loop: Header=BB2_4 Depth=1
	s_and_not1_saveexec_b32 s0, s1
	s_cbranch_execz .LBB2_8
; %bb.7:                                ;   in Loop: Header=BB2_4 Depth=1
	s_sub_co_i32 s1, 0, s4
	v_mov_b32_e32 v9, v4
	v_mul_lo_u32 v0, s1, v38
	s_delay_alu instid0(VALU_DEP_1) | instskip(NEXT) | instid1(VALU_DEP_1)
	v_mul_hi_u32 v0, v38, v0
	v_add_nc_u32_e32 v0, v38, v0
	s_delay_alu instid0(VALU_DEP_1) | instskip(NEXT) | instid1(VALU_DEP_1)
	v_mul_hi_u32 v0, v6, v0
	v_mul_lo_u32 v1, v0, s4
	s_delay_alu instid0(VALU_DEP_1) | instskip(NEXT) | instid1(VALU_DEP_1)
	v_dual_add_nc_u32 v2, 1, v0 :: v_dual_sub_nc_u32 v1, v6, v1
	v_subrev_nc_u32_e32 v3, s4, v1
	v_cmp_le_u32_e32 vcc_lo, s4, v1
	s_delay_alu instid0(VALU_DEP_2) | instskip(NEXT) | instid1(VALU_DEP_1)
	v_dual_cndmask_b32 v1, v1, v3 :: v_dual_cndmask_b32 v0, v0, v2
	v_cmp_le_u32_e32 vcc_lo, s4, v1
	s_delay_alu instid0(VALU_DEP_2) | instskip(NEXT) | instid1(VALU_DEP_1)
	v_add_nc_u32_e32 v2, 1, v0
	v_cndmask_b32_e32 v8, v0, v2, vcc_lo
.LBB2_8:                                ;   in Loop: Header=BB2_4 Depth=1
	s_or_b32 exec_lo, exec_lo, s0
	s_delay_alu instid0(VALU_DEP_1) | instskip(SKIP_1) | instid1(VALU_DEP_1)
	v_mul_u64_e32 v[12:13], s[4:5], v[8:9]
                                        ; implicit-def: $vgpr14_vgpr15
	s_mov_b32 s0, exec_lo
	v_sub_nc_u64_e32 v[10:11], v[6:7], v[12:13]
	s_delay_alu instid0(VALU_DEP_1) | instskip(NEXT) | instid1(VALU_DEP_1)
	v_dual_ashrrev_i32 v2, 31, v11 :: v_dual_bitop2_b32 v5, s15, v11 bitop3:0x54
	v_cmpx_ne_u64_e32 0, v[4:5]
	s_xor_b32 s1, exec_lo, s0
	s_cbranch_execz .LBB2_10
; %bb.9:                                ;   in Loop: Header=BB2_4 Depth=1
	s_ashr_i32 s60, s15, 31
	v_dual_mov_b32 v3, v2 :: v_dual_mov_b32 v15, v4
	s_mov_b32 s61, s60
	v_mov_b32_e32 v23, v4
	s_add_nc_u64 s[62:63], s[14:15], s[60:61]
	s_delay_alu instid0(VALU_DEP_2)
	v_add_nc_u64_e32 v[0:1], v[10:11], v[2:3]
	s_xor_b64 s[62:63], s[62:63], s[60:61]
	v_mov_b32_e32 v19, v4
	s_cvt_f32_u32 s0, s62
	s_cvt_f32_u32 s2, s63
	s_sub_nc_u64 s[66:67], 0, s[62:63]
	s_delay_alu instid0(VALU_DEP_2) | instskip(NEXT) | instid1(SALU_CYCLE_1)
	v_xor_b32_e32 v18, v1, v2
	s_fmamk_f32 s0, s2, 0x4f800000, s0
	v_xor_b32_e32 v14, v0, v2
	s_delay_alu instid0(SALU_CYCLE_2) | instskip(NEXT) | instid1(TRANS32_DEP_1)
	v_s_rcp_f32 s0, s0
	s_mul_f32 s0, s0, 0x5f7ffffc
	s_delay_alu instid0(SALU_CYCLE_3) | instskip(NEXT) | instid1(SALU_CYCLE_3)
	s_mul_f32 s2, s0, 0x2f800000
	s_trunc_f32 s2, s2
	s_delay_alu instid0(SALU_CYCLE_3) | instskip(SKIP_1) | instid1(SALU_CYCLE_2)
	s_fmamk_f32 s0, s2, 0xcf800000, s0
	s_cvt_u32_f32 s65, s2
	s_cvt_u32_f32 s64, s0
	s_delay_alu instid0(SALU_CYCLE_3) | instskip(NEXT) | instid1(SALU_CYCLE_1)
	s_mul_u64 s[68:69], s[66:67], s[64:65]
	s_mul_hi_u32 s71, s64, s69
	s_mul_i32 s70, s64, s69
	s_mul_hi_u32 s2, s64, s68
	s_mul_i32 s31, s65, s68
	s_add_nc_u64 s[70:71], s[2:3], s[70:71]
	s_mul_hi_u32 s0, s65, s68
	s_mul_hi_u32 s61, s65, s69
	s_add_co_u32 s2, s70, s31
	s_add_co_ci_u32 s2, s71, s0
	s_mul_i32 s68, s65, s69
	s_add_co_ci_u32 s69, s61, 0
	s_delay_alu instid0(SALU_CYCLE_1) | instskip(NEXT) | instid1(SALU_CYCLE_1)
	s_add_nc_u64 s[68:69], s[2:3], s[68:69]
	s_add_co_u32 s64, s64, s68
	s_cselect_b32 s0, -1, 0
	s_delay_alu instid0(SALU_CYCLE_1) | instskip(SKIP_1) | instid1(SALU_CYCLE_1)
	s_cmp_lg_u32 s0, 0
	s_add_co_ci_u32 s65, s65, s69
	s_mul_u64 s[66:67], s[66:67], s[64:65]
	s_delay_alu instid0(SALU_CYCLE_1)
	s_mul_hi_u32 s69, s64, s67
	s_mul_i32 s68, s64, s67
	s_mul_hi_u32 s2, s64, s66
	s_mul_i32 s31, s65, s66
	s_add_nc_u64 s[68:69], s[2:3], s[68:69]
	s_mul_hi_u32 s0, s65, s66
	s_mul_hi_u32 s61, s65, s67
	s_add_co_u32 s2, s68, s31
	s_add_co_ci_u32 s2, s69, s0
	s_mul_i32 s66, s65, s67
	s_add_co_ci_u32 s67, s61, 0
	s_delay_alu instid0(SALU_CYCLE_1) | instskip(NEXT) | instid1(SALU_CYCLE_1)
	s_add_nc_u64 s[66:67], s[2:3], s[66:67]
	s_add_co_u32 s0, s64, s66
	s_cselect_b32 s2, -1, 0
	v_nop
	v_mul_hi_u32 v22, v14, s0
	s_cmp_lg_u32 s2, 0
	s_add_co_ci_u32 s2, s65, s67
	s_and_b64 s[64:65], s[0:1], s[28:29]
	v_mul_u64_e32 v[16:17], s[2:3], v[14:15]
	v_mul_u64_e32 v[0:1], s[64:65], v[18:19]
	;; [unrolled: 1-line block ×3, first 2 shown]
	s_delay_alu instid0(VALU_DEP_3) | instskip(NEXT) | instid1(VALU_DEP_1)
	v_add_nc_u64_e32 v[16:17], v[22:23], v[16:17]
	v_add_co_u32 v0, vcc_lo, v16, v0
	s_delay_alu instid0(VALU_DEP_2) | instskip(NEXT) | instid1(VALU_DEP_4)
	v_add_co_ci_u32_e32 v22, vcc_lo, v17, v1, vcc_lo
	v_add_co_ci_u32_e32 v21, vcc_lo, 0, v21, vcc_lo
	s_delay_alu instid0(VALU_DEP_1) | instskip(NEXT) | instid1(VALU_DEP_1)
	v_add_nc_u64_e32 v[0:1], v[22:23], v[20:21]
	v_mul_u64_e32 v[16:17], s[62:63], v[0:1]
	s_delay_alu instid0(VALU_DEP_1) | instskip(NEXT) | instid1(VALU_DEP_2)
	v_sub_nc_u32_e32 v3, v18, v17
	v_sub_co_u32 v5, vcc_lo, v14, v16
	s_delay_alu instid0(VALU_DEP_1) | instskip(NEXT) | instid1(VALU_DEP_3)
	v_sub_co_ci_u32_e64 v18, null, v18, v17, vcc_lo
	v_subrev_co_ci_u32_e64 v3, null, s63, v3, vcc_lo
	s_delay_alu instid0(VALU_DEP_3) | instskip(SKIP_1) | instid1(VALU_DEP_3)
	v_sub_co_u32 v14, s0, v5, s62
	v_add_nc_u64_e32 v[16:17], 1, v[0:1]
	v_subrev_co_ci_u32_e64 v3, null, 0, v3, s0
	s_delay_alu instid0(VALU_DEP_3) | instskip(SKIP_1) | instid1(VALU_DEP_3)
	v_cmp_le_u32_e32 vcc_lo, s62, v14
	v_cndmask_b32_e64 v14, 0, -1, vcc_lo
	v_cmp_le_u32_e32 vcc_lo, s63, v3
	v_cndmask_b32_e64 v15, 0, -1, vcc_lo
	v_cmp_le_u32_e32 vcc_lo, s62, v5
	v_cndmask_b32_e64 v5, 0, -1, vcc_lo
	v_cmp_le_u32_e32 vcc_lo, s63, v18
	v_cndmask_b32_e64 v19, 0, -1, vcc_lo
	v_cmp_eq_u32_e32 vcc_lo, s63, v3
	v_cndmask_b32_e32 v3, v15, v14, vcc_lo
	v_cmp_eq_u32_e32 vcc_lo, s63, v18
	v_add_nc_u64_e32 v[14:15], 2, v[0:1]
	v_cndmask_b32_e32 v5, v19, v5, vcc_lo
	s_delay_alu instid0(VALU_DEP_4) | instskip(NEXT) | instid1(VALU_DEP_3)
	v_cmp_ne_u32_e32 vcc_lo, 0, v3
	v_cndmask_b32_e32 v3, v17, v15, vcc_lo
	s_delay_alu instid0(VALU_DEP_3) | instskip(NEXT) | instid1(VALU_DEP_1)
	v_cmp_ne_u32_e64 s0, 0, v5
	v_dual_cndmask_b32 v5, v16, v14, vcc_lo :: v_dual_cndmask_b32 v1, v1, v3, s0
	s_delay_alu instid0(VALU_DEP_1) | instskip(NEXT) | instid1(VALU_DEP_1)
	v_dual_cndmask_b32 v0, v0, v5, s0 :: v_dual_bitop2_b32 v14, s60, v2 bitop3:0x14
	v_dual_mov_b32 v15, v14 :: v_dual_bitop2_b32 v1, v1, v14 bitop3:0x14
	s_delay_alu instid0(VALU_DEP_2) | instskip(NEXT) | instid1(VALU_DEP_1)
	v_xor_b32_e32 v0, v0, v14
	v_sub_nc_u64_e32 v[14:15], v[0:1], v[14:15]
.LBB2_10:                               ;   in Loop: Header=BB2_4 Depth=1
	s_and_not1_saveexec_b32 s0, s1
	s_cbranch_execz .LBB2_12
; %bb.11:                               ;   in Loop: Header=BB2_4 Depth=1
	v_cvt_f32_u32_e32 v0, s14
	s_sub_co_i32 s1, 0, s14
	v_mov_b32_e32 v15, v4
	s_delay_alu instid0(VALU_DEP_2) | instskip(SKIP_1) | instid1(TRANS32_DEP_1)
	v_rcp_iflag_f32_e32 v0, v0
	v_nop
	v_mul_f32_e32 v0, 0x4f7ffffe, v0
	s_delay_alu instid0(VALU_DEP_1) | instskip(NEXT) | instid1(VALU_DEP_1)
	v_cvt_u32_f32_e32 v0, v0
	v_mul_lo_u32 v1, s1, v0
	s_delay_alu instid0(VALU_DEP_1) | instskip(NEXT) | instid1(VALU_DEP_1)
	v_mul_hi_u32 v1, v0, v1
	v_add_nc_u32_e32 v0, v0, v1
	s_delay_alu instid0(VALU_DEP_1) | instskip(NEXT) | instid1(VALU_DEP_1)
	v_mul_hi_u32 v0, v10, v0
	v_mul_lo_u32 v1, v0, s14
	s_delay_alu instid0(VALU_DEP_1) | instskip(NEXT) | instid1(VALU_DEP_1)
	v_sub_nc_u32_e32 v1, v10, v1
	v_subrev_nc_u32_e32 v5, s14, v1
	v_cmp_le_u32_e32 vcc_lo, s14, v1
	s_delay_alu instid0(VALU_DEP_2) | instskip(NEXT) | instid1(VALU_DEP_1)
	v_dual_add_nc_u32 v3, 1, v0 :: v_dual_cndmask_b32 v1, v1, v5, vcc_lo
	v_cndmask_b32_e32 v0, v0, v3, vcc_lo
	s_delay_alu instid0(VALU_DEP_2) | instskip(NEXT) | instid1(VALU_DEP_2)
	v_cmp_le_u32_e32 vcc_lo, s14, v1
	v_add_nc_u32_e32 v3, 1, v0
	s_delay_alu instid0(VALU_DEP_1)
	v_cndmask_b32_e32 v14, v0, v3, vcc_lo
.LBB2_12:                               ;   in Loop: Header=BB2_4 Depth=1
	s_or_b32 exec_lo, exec_lo, s0
	s_delay_alu instid0(VALU_DEP_1) | instskip(SKIP_1) | instid1(VALU_DEP_1)
	v_or_b32_e32 v5, s13, v15
                                        ; implicit-def: $vgpr0_vgpr1
	s_mov_b32 s0, exec_lo
	v_cmpx_ne_u64_e32 0, v[4:5]
	s_xor_b32 s1, exec_lo, s0
	s_cbranch_execz .LBB2_14
; %bb.13:                               ;   in Loop: Header=BB2_4 Depth=1
	s_ashr_i32 s60, s13, 31
	v_dual_mov_b32 v19, v4 :: v_dual_ashrrev_i32 v0, 31, v15
	s_mov_b32 s61, s60
	v_mov_b32_e32 v23, v4
	s_add_nc_u64 s[62:63], s[12:13], s[60:61]
	s_delay_alu instid0(VALU_DEP_2)
	v_mov_b32_e32 v1, v0
	s_xor_b64 s[60:61], s[62:63], s[60:61]
	v_mov_b32_e32 v27, v4
	s_cvt_f32_u32 s0, s60
	s_cvt_f32_u32 s2, s61
	s_sub_nc_u64 s[64:65], 0, s[60:61]
	v_add_nc_u64_e32 v[16:17], v[14:15], v[0:1]
	s_delay_alu instid0(SALU_CYCLE_1) | instskip(NEXT) | instid1(SALU_CYCLE_3)
	s_fmamk_f32 s0, s2, 0x4f800000, s0
	v_s_rcp_f32 s0, s0
	s_delay_alu instid0(VALU_DEP_1) | instskip(NEXT) | instid1(VALU_DEP_2)
	v_xor_b32_e32 v22, v17, v0
	v_xor_b32_e32 v18, v16, v0
	s_delay_alu instid0(TRANS32_DEP_1) | instskip(NEXT) | instid1(SALU_CYCLE_3)
	s_mul_f32 s0, s0, 0x5f7ffffc
	s_mul_f32 s2, s0, 0x2f800000
	s_delay_alu instid0(SALU_CYCLE_3) | instskip(NEXT) | instid1(SALU_CYCLE_3)
	s_trunc_f32 s2, s2
	s_fmamk_f32 s0, s2, 0xcf800000, s0
	s_cvt_u32_f32 s63, s2
	s_delay_alu instid0(SALU_CYCLE_2) | instskip(NEXT) | instid1(SALU_CYCLE_3)
	s_cvt_u32_f32 s62, s0
	s_mul_u64 s[66:67], s[64:65], s[62:63]
	s_delay_alu instid0(SALU_CYCLE_1)
	s_mul_hi_u32 s69, s62, s67
	s_mul_i32 s68, s62, s67
	s_mul_hi_u32 s2, s62, s66
	s_mul_i32 s31, s63, s66
	s_add_nc_u64 s[68:69], s[2:3], s[68:69]
	s_mul_hi_u32 s0, s63, s66
	s_mul_hi_u32 s70, s63, s67
	s_add_co_u32 s2, s68, s31
	s_add_co_ci_u32 s2, s69, s0
	s_mul_i32 s66, s63, s67
	s_add_co_ci_u32 s67, s70, 0
	s_delay_alu instid0(SALU_CYCLE_1) | instskip(NEXT) | instid1(SALU_CYCLE_1)
	s_add_nc_u64 s[66:67], s[2:3], s[66:67]
	s_add_co_u32 s62, s62, s66
	s_cselect_b32 s0, -1, 0
	s_delay_alu instid0(SALU_CYCLE_1) | instskip(SKIP_1) | instid1(SALU_CYCLE_1)
	s_cmp_lg_u32 s0, 0
	s_add_co_ci_u32 s63, s63, s67
	s_mul_u64 s[64:65], s[64:65], s[62:63]
	s_delay_alu instid0(SALU_CYCLE_1)
	s_mul_hi_u32 s67, s62, s65
	s_mul_i32 s66, s62, s65
	s_mul_hi_u32 s2, s62, s64
	s_mul_i32 s31, s63, s64
	s_add_nc_u64 s[66:67], s[2:3], s[66:67]
	s_mul_hi_u32 s0, s63, s64
	s_mul_hi_u32 s68, s63, s65
	s_add_co_u32 s2, s66, s31
	s_add_co_ci_u32 s2, s67, s0
	s_mul_i32 s64, s63, s65
	s_add_co_ci_u32 s65, s68, 0
	s_delay_alu instid0(SALU_CYCLE_1) | instskip(NEXT) | instid1(SALU_CYCLE_1)
	s_add_nc_u64 s[64:65], s[2:3], s[64:65]
	s_add_co_u32 s0, s62, s64
	s_cselect_b32 s2, -1, 0
	v_mul_hi_u32 v26, v18, s0
	s_cmp_lg_u32 s2, 0
	s_add_co_ci_u32 s2, s63, s65
	s_and_b64 s[62:63], s[0:1], s[28:29]
	v_mul_u64_e32 v[20:21], s[2:3], v[18:19]
	v_mul_u64_e32 v[16:17], s[62:63], v[22:23]
	;; [unrolled: 1-line block ×3, first 2 shown]
	s_delay_alu instid0(VALU_DEP_3) | instskip(NEXT) | instid1(VALU_DEP_1)
	v_add_nc_u64_e32 v[20:21], v[26:27], v[20:21]
	v_add_co_u32 v3, vcc_lo, v20, v16
	s_delay_alu instid0(VALU_DEP_2) | instskip(NEXT) | instid1(VALU_DEP_4)
	v_add_co_ci_u32_e32 v26, vcc_lo, v21, v17, vcc_lo
	v_add_co_ci_u32_e32 v25, vcc_lo, 0, v25, vcc_lo
	s_delay_alu instid0(VALU_DEP_1) | instskip(NEXT) | instid1(VALU_DEP_1)
	v_add_nc_u64_e32 v[16:17], v[26:27], v[24:25]
	v_mul_u64_e32 v[16:17], s[60:61], v[16:17]
	s_delay_alu instid0(VALU_DEP_1) | instskip(NEXT) | instid1(VALU_DEP_2)
	v_sub_nc_u32_e32 v3, v22, v17
	v_sub_co_u32 v5, vcc_lo, v18, v16
	s_delay_alu instid0(VALU_DEP_1) | instskip(NEXT) | instid1(VALU_DEP_3)
	v_sub_co_ci_u32_e64 v16, null, v22, v17, vcc_lo
	v_subrev_co_ci_u32_e64 v3, null, s61, v3, vcc_lo
	s_delay_alu instid0(VALU_DEP_3) | instskip(SKIP_1) | instid1(VALU_DEP_3)
	v_sub_co_u32 v17, vcc_lo, v5, s60
	v_cmp_le_u32_e64 s0, s60, v5
	v_subrev_co_ci_u32_e64 v18, null, 0, v3, vcc_lo
	v_subrev_co_ci_u32_e64 v3, null, s61, v3, vcc_lo
	s_delay_alu instid0(VALU_DEP_3) | instskip(SKIP_2) | instid1(VALU_DEP_2)
	v_cndmask_b32_e64 v19, 0, -1, s0
	v_cmp_le_u32_e64 s0, s60, v17
	v_cmp_le_u32_e32 vcc_lo, s61, v16
	v_cndmask_b32_e64 v20, 0, -1, s0
	v_cmp_le_u32_e64 s0, s61, v18
	v_cndmask_b32_e64 v22, 0, -1, vcc_lo
	v_cmp_eq_u32_e32 vcc_lo, s61, v18
	s_delay_alu instid0(VALU_DEP_3) | instskip(SKIP_1) | instid1(VALU_DEP_1)
	v_cndmask_b32_e64 v21, 0, -1, s0
	v_cmp_eq_u32_e64 s0, s61, v16
	v_dual_cndmask_b32 v20, v21, v20, vcc_lo :: v_dual_cndmask_b32 v19, v22, v19, s0
	v_sub_co_u32 v21, vcc_lo, v17, s60
	s_delay_alu instid0(VALU_DEP_1) | instskip(NEXT) | instid1(VALU_DEP_3)
	v_subrev_co_ci_u32_e64 v3, null, 0, v3, vcc_lo
	v_cmp_ne_u32_e32 vcc_lo, 0, v20
	s_delay_alu instid0(VALU_DEP_2) | instskip(SKIP_1) | instid1(VALU_DEP_2)
	v_dual_cndmask_b32 v3, v18, v3, vcc_lo :: v_dual_cndmask_b32 v17, v17, v21, vcc_lo
	v_cmp_ne_u32_e32 vcc_lo, 0, v19
	v_dual_cndmask_b32 v3, v16, v3, vcc_lo :: v_dual_cndmask_b32 v5, v5, v17, vcc_lo
	s_delay_alu instid0(VALU_DEP_1) | instskip(NEXT) | instid1(VALU_DEP_2)
	v_xor_b32_e32 v17, v3, v0
	v_xor_b32_e32 v16, v5, v0
	s_delay_alu instid0(VALU_DEP_1)
	v_sub_nc_u64_e32 v[0:1], v[16:17], v[0:1]
.LBB2_14:                               ;   in Loop: Header=BB2_4 Depth=1
	s_and_not1_saveexec_b32 s0, s1
	s_cbranch_execz .LBB2_16
; %bb.15:                               ;   in Loop: Header=BB2_4 Depth=1
	v_cvt_f32_u32_e32 v0, s12
	s_sub_co_i32 s1, 0, s12
	s_delay_alu instid0(VALU_DEP_1) | instskip(SKIP_1) | instid1(TRANS32_DEP_1)
	v_rcp_iflag_f32_e32 v0, v0
	v_nop
	v_mul_f32_e32 v0, 0x4f7ffffe, v0
	s_delay_alu instid0(VALU_DEP_1) | instskip(NEXT) | instid1(VALU_DEP_1)
	v_cvt_u32_f32_e32 v0, v0
	v_mul_lo_u32 v1, s1, v0
	s_delay_alu instid0(VALU_DEP_1) | instskip(NEXT) | instid1(VALU_DEP_1)
	v_mul_hi_u32 v1, v0, v1
	v_add_nc_u32_e32 v0, v0, v1
	s_delay_alu instid0(VALU_DEP_1) | instskip(NEXT) | instid1(VALU_DEP_1)
	v_mul_hi_u32 v0, v14, v0
	v_mul_lo_u32 v0, v0, s12
	s_delay_alu instid0(VALU_DEP_1) | instskip(NEXT) | instid1(VALU_DEP_1)
	v_sub_nc_u32_e32 v0, v14, v0
	v_subrev_nc_u32_e32 v1, s12, v0
	v_cmp_le_u32_e32 vcc_lo, s12, v0
	s_delay_alu instid0(VALU_DEP_2) | instskip(NEXT) | instid1(VALU_DEP_1)
	v_cndmask_b32_e32 v0, v0, v1, vcc_lo
	v_subrev_nc_u32_e32 v1, s12, v0
	v_cmp_le_u32_e32 vcc_lo, s12, v0
	s_delay_alu instid0(VALU_DEP_2)
	v_cndmask_b32_e32 v0, v0, v1, vcc_lo
	v_mov_b32_e32 v1, v4
.LBB2_16:                               ;   in Loop: Header=BB2_4 Depth=1
	s_or_b32 exec_lo, exec_lo, s0
	v_or_b32_e32 v5, s25, v11
                                        ; implicit-def: $vgpr18_vgpr19
	s_mov_b32 s0, exec_lo
	s_delay_alu instid0(VALU_DEP_1)
	v_cmpx_ne_u64_e32 0, v[4:5]
	s_xor_b32 s1, exec_lo, s0
	s_cbranch_execz .LBB2_18
; %bb.17:                               ;   in Loop: Header=BB2_4 Depth=1
	s_ashr_i32 s60, s25, 31
	v_dual_mov_b32 v3, v2 :: v_dual_mov_b32 v19, v4
	s_mov_b32 s61, s60
	v_mov_b32_e32 v27, v4
	s_add_nc_u64 s[62:63], s[24:25], s[60:61]
	s_delay_alu instid0(VALU_DEP_2)
	v_add_nc_u64_e32 v[16:17], v[10:11], v[2:3]
	s_xor_b64 s[62:63], s[62:63], s[60:61]
	v_mov_b32_e32 v23, v4
	s_cvt_f32_u32 s0, s62
	s_cvt_f32_u32 s2, s63
	s_sub_nc_u64 s[66:67], 0, s[62:63]
	s_delay_alu instid0(VALU_DEP_2) | instskip(NEXT) | instid1(SALU_CYCLE_1)
	v_xor_b32_e32 v22, v17, v2
	s_fmamk_f32 s0, s2, 0x4f800000, s0
	v_xor_b32_e32 v18, v16, v2
	s_delay_alu instid0(SALU_CYCLE_2) | instskip(NEXT) | instid1(TRANS32_DEP_1)
	v_s_rcp_f32 s0, s0
	s_mul_f32 s0, s0, 0x5f7ffffc
	s_delay_alu instid0(SALU_CYCLE_3) | instskip(NEXT) | instid1(SALU_CYCLE_3)
	s_mul_f32 s2, s0, 0x2f800000
	s_trunc_f32 s2, s2
	s_delay_alu instid0(SALU_CYCLE_3) | instskip(SKIP_1) | instid1(SALU_CYCLE_2)
	s_fmamk_f32 s0, s2, 0xcf800000, s0
	s_cvt_u32_f32 s65, s2
	s_cvt_u32_f32 s64, s0
	s_delay_alu instid0(SALU_CYCLE_3) | instskip(NEXT) | instid1(SALU_CYCLE_1)
	s_mul_u64 s[68:69], s[66:67], s[64:65]
	s_mul_hi_u32 s71, s64, s69
	s_mul_i32 s70, s64, s69
	s_mul_hi_u32 s2, s64, s68
	s_mul_i32 s31, s65, s68
	s_add_nc_u64 s[70:71], s[2:3], s[70:71]
	s_mul_hi_u32 s0, s65, s68
	s_mul_hi_u32 s61, s65, s69
	s_add_co_u32 s2, s70, s31
	s_add_co_ci_u32 s2, s71, s0
	s_mul_i32 s68, s65, s69
	s_add_co_ci_u32 s69, s61, 0
	s_delay_alu instid0(SALU_CYCLE_1) | instskip(NEXT) | instid1(SALU_CYCLE_1)
	s_add_nc_u64 s[68:69], s[2:3], s[68:69]
	s_add_co_u32 s64, s64, s68
	s_cselect_b32 s0, -1, 0
	s_delay_alu instid0(SALU_CYCLE_1) | instskip(SKIP_1) | instid1(SALU_CYCLE_1)
	s_cmp_lg_u32 s0, 0
	s_add_co_ci_u32 s65, s65, s69
	s_mul_u64 s[66:67], s[66:67], s[64:65]
	s_delay_alu instid0(SALU_CYCLE_1)
	s_mul_hi_u32 s69, s64, s67
	s_mul_i32 s68, s64, s67
	s_mul_hi_u32 s2, s64, s66
	s_mul_i32 s31, s65, s66
	s_add_nc_u64 s[68:69], s[2:3], s[68:69]
	s_mul_hi_u32 s0, s65, s66
	s_mul_hi_u32 s61, s65, s67
	s_add_co_u32 s2, s68, s31
	s_add_co_ci_u32 s2, s69, s0
	s_mul_i32 s66, s65, s67
	s_add_co_ci_u32 s67, s61, 0
	s_delay_alu instid0(SALU_CYCLE_1) | instskip(NEXT) | instid1(SALU_CYCLE_1)
	s_add_nc_u64 s[66:67], s[2:3], s[66:67]
	s_add_co_u32 s0, s64, s66
	s_cselect_b32 s2, -1, 0
	v_nop
	v_mul_hi_u32 v26, v18, s0
	s_cmp_lg_u32 s2, 0
	s_add_co_ci_u32 s2, s65, s67
	s_and_b64 s[64:65], s[0:1], s[28:29]
	v_mul_u64_e32 v[20:21], s[2:3], v[18:19]
	v_mul_u64_e32 v[16:17], s[64:65], v[22:23]
	;; [unrolled: 1-line block ×3, first 2 shown]
	s_delay_alu instid0(VALU_DEP_3) | instskip(NEXT) | instid1(VALU_DEP_1)
	v_add_nc_u64_e32 v[20:21], v[26:27], v[20:21]
	v_add_co_u32 v3, vcc_lo, v20, v16
	s_delay_alu instid0(VALU_DEP_2) | instskip(NEXT) | instid1(VALU_DEP_4)
	v_add_co_ci_u32_e32 v26, vcc_lo, v21, v17, vcc_lo
	v_add_co_ci_u32_e32 v25, vcc_lo, 0, v25, vcc_lo
	s_delay_alu instid0(VALU_DEP_1) | instskip(NEXT) | instid1(VALU_DEP_1)
	v_add_nc_u64_e32 v[16:17], v[26:27], v[24:25]
	v_mul_u64_e32 v[20:21], s[62:63], v[16:17]
	s_delay_alu instid0(VALU_DEP_1) | instskip(NEXT) | instid1(VALU_DEP_2)
	v_sub_nc_u32_e32 v3, v22, v21
	v_sub_co_u32 v5, vcc_lo, v18, v20
	s_delay_alu instid0(VALU_DEP_1) | instskip(NEXT) | instid1(VALU_DEP_3)
	v_sub_co_ci_u32_e64 v22, null, v22, v21, vcc_lo
	v_subrev_co_ci_u32_e64 v3, null, s63, v3, vcc_lo
	s_delay_alu instid0(VALU_DEP_3) | instskip(SKIP_1) | instid1(VALU_DEP_3)
	v_sub_co_u32 v18, s0, v5, s62
	v_add_nc_u64_e32 v[20:21], 1, v[16:17]
	v_subrev_co_ci_u32_e64 v3, null, 0, v3, s0
	s_delay_alu instid0(VALU_DEP_3) | instskip(SKIP_1) | instid1(VALU_DEP_3)
	v_cmp_le_u32_e32 vcc_lo, s62, v18
	v_cndmask_b32_e64 v18, 0, -1, vcc_lo
	v_cmp_le_u32_e32 vcc_lo, s63, v3
	v_cndmask_b32_e64 v19, 0, -1, vcc_lo
	;; [unrolled: 2-line block ×4, first 2 shown]
	v_cmp_eq_u32_e32 vcc_lo, s63, v3
	v_cndmask_b32_e32 v3, v19, v18, vcc_lo
	v_cmp_eq_u32_e32 vcc_lo, s63, v22
	v_add_nc_u64_e32 v[18:19], 2, v[16:17]
	v_cndmask_b32_e32 v5, v23, v5, vcc_lo
	s_delay_alu instid0(VALU_DEP_4) | instskip(NEXT) | instid1(VALU_DEP_3)
	v_cmp_ne_u32_e32 vcc_lo, 0, v3
	v_cndmask_b32_e32 v3, v21, v19, vcc_lo
	s_delay_alu instid0(VALU_DEP_3) | instskip(NEXT) | instid1(VALU_DEP_1)
	v_cmp_ne_u32_e64 s0, 0, v5
	v_dual_cndmask_b32 v5, v20, v18, vcc_lo :: v_dual_cndmask_b32 v17, v17, v3, s0
	s_delay_alu instid0(VALU_DEP_1) | instskip(NEXT) | instid1(VALU_DEP_1)
	v_dual_cndmask_b32 v5, v16, v5, s0 :: v_dual_bitop2_b32 v2, s60, v2 bitop3:0x14
	v_dual_mov_b32 v3, v2 :: v_dual_bitop2_b32 v17, v17, v2 bitop3:0x14
	s_delay_alu instid0(VALU_DEP_2) | instskip(NEXT) | instid1(VALU_DEP_1)
	v_xor_b32_e32 v16, v5, v2
	v_sub_nc_u64_e32 v[18:19], v[16:17], v[2:3]
.LBB2_18:                               ;   in Loop: Header=BB2_4 Depth=1
	s_and_not1_saveexec_b32 s0, s1
	s_cbranch_execz .LBB2_20
; %bb.19:                               ;   in Loop: Header=BB2_4 Depth=1
	v_cvt_f32_u32_e32 v2, s24
	s_sub_co_i32 s1, 0, s24
	v_mov_b32_e32 v19, v4
	s_delay_alu instid0(VALU_DEP_2) | instskip(SKIP_1) | instid1(TRANS32_DEP_1)
	v_rcp_iflag_f32_e32 v2, v2
	v_nop
	v_mul_f32_e32 v2, 0x4f7ffffe, v2
	s_delay_alu instid0(VALU_DEP_1) | instskip(NEXT) | instid1(VALU_DEP_1)
	v_cvt_u32_f32_e32 v2, v2
	v_mul_lo_u32 v3, s1, v2
	s_delay_alu instid0(VALU_DEP_1) | instskip(NEXT) | instid1(VALU_DEP_1)
	v_mul_hi_u32 v3, v2, v3
	v_add_nc_u32_e32 v2, v2, v3
	s_delay_alu instid0(VALU_DEP_1) | instskip(NEXT) | instid1(VALU_DEP_1)
	v_mul_hi_u32 v2, v10, v2
	v_mul_lo_u32 v3, v2, s24
	s_delay_alu instid0(VALU_DEP_1) | instskip(NEXT) | instid1(VALU_DEP_1)
	v_dual_add_nc_u32 v5, 1, v2 :: v_dual_sub_nc_u32 v3, v10, v3
	v_subrev_nc_u32_e32 v16, s24, v3
	v_cmp_le_u32_e32 vcc_lo, s24, v3
	s_delay_alu instid0(VALU_DEP_2) | instskip(NEXT) | instid1(VALU_DEP_1)
	v_dual_cndmask_b32 v3, v3, v16 :: v_dual_cndmask_b32 v2, v2, v5
	v_cmp_le_u32_e32 vcc_lo, s24, v3
	s_delay_alu instid0(VALU_DEP_2) | instskip(NEXT) | instid1(VALU_DEP_1)
	v_add_nc_u32_e32 v5, 1, v2
	v_cndmask_b32_e32 v18, v2, v5, vcc_lo
.LBB2_20:                               ;   in Loop: Header=BB2_4 Depth=1
	s_or_b32 exec_lo, exec_lo, s0
	v_mul_u64_e32 v[20:21], s[14:15], v[14:15]
	v_mov_b64_e32 v[14:15], 0
	s_mov_b32 s1, exec_lo
	s_delay_alu instid0(VALU_DEP_2) | instskip(NEXT) | instid1(VALU_DEP_1)
	v_sub_nc_u64_e32 v[2:3], v[10:11], v[20:21]
	v_add_nc_u64_e32 v[2:3], s[38:39], v[2:3]
	s_delay_alu instid0(VALU_DEP_1)
	v_cmpx_lt_i64_e64 s[34:35], v[2:3]
	s_cbranch_execz .LBB2_26
; %bb.21:                               ;   in Loop: Header=BB2_4 Depth=1
	v_add_nc_u64_e32 v[14:15], s[58:59], v[2:3]
                                        ; implicit-def: $vgpr16_vgpr17
	s_mov_b32 s0, exec_lo
	s_delay_alu instid0(VALU_DEP_1) | instskip(NEXT) | instid1(VALU_DEP_1)
	v_or_b32_e32 v5, s43, v15
	v_cmpx_ne_u64_e32 0, v[4:5]
	s_xor_b32 s31, exec_lo, s0
	s_cbranch_execz .LBB2_23
; %bb.22:                               ;   in Loop: Header=BB2_4 Depth=1
	s_ashr_i32 s60, s43, 31
	v_dual_mov_b32 v23, v4 :: v_dual_ashrrev_i32 v16, 31, v15
	s_mov_b32 s61, s60
	s_delay_alu instid0(SALU_CYCLE_1) | instskip(NEXT) | instid1(VALU_DEP_1)
	s_add_nc_u64 s[62:63], s[42:43], s[60:61]
	v_mov_b32_e32 v17, v16
	s_xor_b64 s[62:63], s[62:63], s[60:61]
	s_delay_alu instid0(SALU_CYCLE_1)
	s_cvt_f32_u32 s0, s62
	s_cvt_f32_u32 s2, s63
	s_sub_nc_u64 s[66:67], 0, s[62:63]
	v_add_nc_u64_e32 v[14:15], v[14:15], v[16:17]
	v_mov_b32_e32 v27, v4
	s_fmamk_f32 s0, s2, 0x4f800000, s0
	s_delay_alu instid0(SALU_CYCLE_3) | instskip(NEXT) | instid1(VALU_DEP_2)
	v_s_rcp_f32 s0, s0
	v_xor_b32_e32 v22, v14, v16
	s_delay_alu instid0(VALU_DEP_3) | instskip(NEXT) | instid1(TRANS32_DEP_1)
	v_dual_mov_b32 v31, v4 :: v_dual_bitop2_b32 v26, v15, v16 bitop3:0x14
	s_mul_f32 s0, s0, 0x5f7ffffc
	s_delay_alu instid0(SALU_CYCLE_3) | instskip(NEXT) | instid1(SALU_CYCLE_3)
	s_mul_f32 s2, s0, 0x2f800000
	s_trunc_f32 s2, s2
	s_delay_alu instid0(SALU_CYCLE_3) | instskip(SKIP_1) | instid1(SALU_CYCLE_2)
	s_fmamk_f32 s0, s2, 0xcf800000, s0
	s_cvt_u32_f32 s65, s2
	s_cvt_u32_f32 s64, s0
	s_delay_alu instid0(SALU_CYCLE_3) | instskip(NEXT) | instid1(SALU_CYCLE_1)
	s_mul_u64 s[68:69], s[66:67], s[64:65]
	s_mul_hi_u32 s71, s64, s69
	s_mul_i32 s70, s64, s69
	s_mul_hi_u32 s2, s64, s68
	s_mul_i32 s61, s65, s68
	s_add_nc_u64 s[70:71], s[2:3], s[70:71]
	s_mul_hi_u32 s0, s65, s68
	s_mul_hi_u32 s72, s65, s69
	s_add_co_u32 s2, s70, s61
	s_add_co_ci_u32 s2, s71, s0
	s_mul_i32 s68, s65, s69
	s_add_co_ci_u32 s69, s72, 0
	s_delay_alu instid0(SALU_CYCLE_1) | instskip(NEXT) | instid1(SALU_CYCLE_1)
	s_add_nc_u64 s[68:69], s[2:3], s[68:69]
	s_add_co_u32 s64, s64, s68
	s_cselect_b32 s0, -1, 0
	s_delay_alu instid0(SALU_CYCLE_1) | instskip(SKIP_1) | instid1(SALU_CYCLE_1)
	s_cmp_lg_u32 s0, 0
	s_add_co_ci_u32 s65, s65, s69
	s_mul_u64 s[66:67], s[66:67], s[64:65]
	s_delay_alu instid0(SALU_CYCLE_1)
	s_mul_hi_u32 s69, s64, s67
	s_mul_i32 s68, s64, s67
	s_mul_hi_u32 s2, s64, s66
	s_mul_i32 s61, s65, s66
	s_add_nc_u64 s[68:69], s[2:3], s[68:69]
	s_mul_hi_u32 s0, s65, s66
	s_mul_hi_u32 s70, s65, s67
	s_add_co_u32 s2, s68, s61
	s_add_co_ci_u32 s2, s69, s0
	s_mul_i32 s66, s65, s67
	s_add_co_ci_u32 s67, s70, 0
	s_delay_alu instid0(SALU_CYCLE_1) | instskip(NEXT) | instid1(SALU_CYCLE_1)
	s_add_nc_u64 s[66:67], s[2:3], s[66:67]
	s_add_co_u32 s0, s64, s66
	s_cselect_b32 s2, -1, 0
	v_mul_hi_u32 v30, v22, s0
	s_cmp_lg_u32 s2, 0
	s_add_co_ci_u32 s2, s65, s67
	s_and_b64 s[64:65], s[0:1], s[28:29]
	v_mul_u64_e32 v[24:25], s[2:3], v[22:23]
	v_mul_u64_e32 v[14:15], s[64:65], v[26:27]
	v_mul_u64_e32 v[28:29], s[2:3], v[26:27]
	s_delay_alu instid0(VALU_DEP_3) | instskip(NEXT) | instid1(VALU_DEP_1)
	v_add_nc_u64_e32 v[24:25], v[30:31], v[24:25]
	v_add_co_u32 v5, vcc_lo, v24, v14
	s_delay_alu instid0(VALU_DEP_2) | instskip(NEXT) | instid1(VALU_DEP_4)
	v_add_co_ci_u32_e32 v30, vcc_lo, v25, v15, vcc_lo
	v_add_co_ci_u32_e32 v29, vcc_lo, 0, v29, vcc_lo
	s_delay_alu instid0(VALU_DEP_1) | instskip(NEXT) | instid1(VALU_DEP_1)
	v_add_nc_u64_e32 v[14:15], v[30:31], v[28:29]
	v_mul_u64_e32 v[24:25], s[62:63], v[14:15]
	s_delay_alu instid0(VALU_DEP_1) | instskip(NEXT) | instid1(VALU_DEP_2)
	v_sub_nc_u32_e32 v5, v26, v25
	v_sub_co_u32 v17, vcc_lo, v22, v24
	s_delay_alu instid0(VALU_DEP_1) | instskip(NEXT) | instid1(VALU_DEP_3)
	v_sub_co_ci_u32_e64 v26, null, v26, v25, vcc_lo
	v_subrev_co_ci_u32_e64 v5, null, s63, v5, vcc_lo
	s_delay_alu instid0(VALU_DEP_3) | instskip(SKIP_1) | instid1(VALU_DEP_3)
	v_sub_co_u32 v22, s0, v17, s62
	v_add_nc_u64_e32 v[24:25], 1, v[14:15]
	v_subrev_co_ci_u32_e64 v5, null, 0, v5, s0
	s_delay_alu instid0(VALU_DEP_3) | instskip(SKIP_1) | instid1(VALU_DEP_3)
	v_cmp_le_u32_e32 vcc_lo, s62, v22
	v_cndmask_b32_e64 v22, 0, -1, vcc_lo
	v_cmp_le_u32_e32 vcc_lo, s63, v5
	v_cndmask_b32_e64 v23, 0, -1, vcc_lo
	;; [unrolled: 2-line block ×4, first 2 shown]
	v_cmp_eq_u32_e32 vcc_lo, s63, v5
	v_cndmask_b32_e32 v5, v23, v22, vcc_lo
	v_cmp_eq_u32_e32 vcc_lo, s63, v26
	v_add_nc_u64_e32 v[22:23], 2, v[14:15]
	v_cndmask_b32_e32 v17, v27, v17, vcc_lo
	s_delay_alu instid0(VALU_DEP_4) | instskip(NEXT) | instid1(VALU_DEP_3)
	v_cmp_ne_u32_e32 vcc_lo, 0, v5
	v_cndmask_b32_e32 v5, v25, v23, vcc_lo
	s_delay_alu instid0(VALU_DEP_3) | instskip(SKIP_1) | instid1(VALU_DEP_2)
	v_cmp_ne_u32_e64 s0, 0, v17
	v_dual_cndmask_b32 v17, v24, v22, vcc_lo :: v_dual_bitop2_b32 v16, s60, v16 bitop3:0x14
	v_cndmask_b32_e64 v5, v15, v5, s0
	s_delay_alu instid0(VALU_DEP_2) | instskip(NEXT) | instid1(VALU_DEP_2)
	v_dual_cndmask_b32 v14, v14, v17, s0 :: v_dual_mov_b32 v17, v16
	v_xor_b32_e32 v15, v5, v16
	s_delay_alu instid0(VALU_DEP_2) | instskip(NEXT) | instid1(VALU_DEP_1)
	v_xor_b32_e32 v14, v14, v16
	v_sub_nc_u64_e32 v[16:17], v[14:15], v[16:17]
                                        ; implicit-def: $vgpr14_vgpr15
.LBB2_23:                               ;   in Loop: Header=BB2_4 Depth=1
	s_and_not1_saveexec_b32 s0, s31
	s_cbranch_execz .LBB2_25
; %bb.24:                               ;   in Loop: Header=BB2_4 Depth=1
	v_cvt_f32_u32_e32 v5, s42
	s_sub_co_i32 s2, 0, s42
	v_mov_b32_e32 v17, v4
	s_delay_alu instid0(VALU_DEP_2) | instskip(SKIP_1) | instid1(TRANS32_DEP_1)
	v_rcp_iflag_f32_e32 v5, v5
	v_nop
	v_mul_f32_e32 v5, 0x4f7ffffe, v5
	s_delay_alu instid0(VALU_DEP_1) | instskip(NEXT) | instid1(VALU_DEP_1)
	v_cvt_u32_f32_e32 v5, v5
	v_mul_lo_u32 v15, s2, v5
	s_delay_alu instid0(VALU_DEP_1) | instskip(NEXT) | instid1(VALU_DEP_1)
	v_mul_hi_u32 v15, v5, v15
	v_add_nc_u32_e32 v5, v5, v15
	s_delay_alu instid0(VALU_DEP_1) | instskip(NEXT) | instid1(VALU_DEP_1)
	v_mul_hi_u32 v5, v14, v5
	v_mul_lo_u32 v15, v5, s42
	s_delay_alu instid0(VALU_DEP_1) | instskip(NEXT) | instid1(VALU_DEP_1)
	v_dual_sub_nc_u32 v14, v14, v15 :: v_dual_add_nc_u32 v15, 1, v5
	v_subrev_nc_u32_e32 v16, s42, v14
	v_cmp_le_u32_e32 vcc_lo, s42, v14
	s_delay_alu instid0(VALU_DEP_2) | instskip(NEXT) | instid1(VALU_DEP_1)
	v_dual_cndmask_b32 v14, v14, v16 :: v_dual_cndmask_b32 v5, v5, v15
	v_cmp_le_u32_e32 vcc_lo, s42, v14
	s_delay_alu instid0(VALU_DEP_2) | instskip(NEXT) | instid1(VALU_DEP_1)
	v_add_nc_u32_e32 v15, 1, v5
	v_cndmask_b32_e32 v16, v5, v15, vcc_lo
.LBB2_25:                               ;   in Loop: Header=BB2_4 Depth=1
	s_or_b32 exec_lo, exec_lo, s0
	s_delay_alu instid0(VALU_DEP_1)
	v_add_nc_u64_e32 v[14:15], 1, v[16:17]
.LBB2_26:                               ;   in Loop: Header=BB2_4 Depth=1
	s_or_b32 exec_lo, exec_lo, s1
	v_or_b32_e32 v5, s43, v3
                                        ; implicit-def: $vgpr26_vgpr27
	s_mov_b32 s0, exec_lo
	s_delay_alu instid0(VALU_DEP_1)
	v_cmpx_ne_u64_e32 0, v[4:5]
	s_xor_b32 s1, exec_lo, s0
	s_cbranch_execz .LBB2_28
; %bb.27:                               ;   in Loop: Header=BB2_4 Depth=1
	s_ashr_i32 s60, s43, 31
	v_dual_mov_b32 v23, v4 :: v_dual_ashrrev_i32 v16, 31, v3
	s_mov_b32 s61, s60
	s_delay_alu instid0(SALU_CYCLE_1) | instskip(NEXT) | instid1(VALU_DEP_1)
	s_add_nc_u64 s[62:63], s[42:43], s[60:61]
	v_mov_b32_e32 v17, v16
	s_xor_b64 s[62:63], s[62:63], s[60:61]
	s_delay_alu instid0(SALU_CYCLE_1)
	s_cvt_f32_u32 s0, s62
	s_cvt_f32_u32 s2, s63
	s_sub_nc_u64 s[66:67], 0, s[62:63]
	v_add_nc_u64_e32 v[2:3], v[2:3], v[16:17]
	v_mov_b32_e32 v27, v4
	s_fmamk_f32 s0, s2, 0x4f800000, s0
	s_delay_alu instid0(SALU_CYCLE_3) | instskip(NEXT) | instid1(VALU_DEP_2)
	v_s_rcp_f32 s0, s0
	v_xor_b32_e32 v22, v2, v16
	s_delay_alu instid0(VALU_DEP_3) | instskip(NEXT) | instid1(TRANS32_DEP_1)
	v_dual_mov_b32 v31, v4 :: v_dual_bitop2_b32 v26, v3, v16 bitop3:0x14
	s_mul_f32 s0, s0, 0x5f7ffffc
	s_delay_alu instid0(SALU_CYCLE_3) | instskip(NEXT) | instid1(SALU_CYCLE_3)
	s_mul_f32 s2, s0, 0x2f800000
	s_trunc_f32 s2, s2
	s_delay_alu instid0(SALU_CYCLE_3) | instskip(SKIP_1) | instid1(SALU_CYCLE_2)
	s_fmamk_f32 s0, s2, 0xcf800000, s0
	s_cvt_u32_f32 s65, s2
	s_cvt_u32_f32 s64, s0
	s_delay_alu instid0(SALU_CYCLE_3) | instskip(NEXT) | instid1(SALU_CYCLE_1)
	s_mul_u64 s[68:69], s[66:67], s[64:65]
	s_mul_hi_u32 s71, s64, s69
	s_mul_i32 s70, s64, s69
	s_mul_hi_u32 s2, s64, s68
	s_mul_i32 s31, s65, s68
	s_add_nc_u64 s[70:71], s[2:3], s[70:71]
	s_mul_hi_u32 s0, s65, s68
	s_mul_hi_u32 s61, s65, s69
	s_add_co_u32 s2, s70, s31
	s_add_co_ci_u32 s2, s71, s0
	s_mul_i32 s68, s65, s69
	s_add_co_ci_u32 s69, s61, 0
	s_delay_alu instid0(SALU_CYCLE_1) | instskip(NEXT) | instid1(SALU_CYCLE_1)
	s_add_nc_u64 s[68:69], s[2:3], s[68:69]
	s_add_co_u32 s64, s64, s68
	s_cselect_b32 s0, -1, 0
	s_delay_alu instid0(SALU_CYCLE_1) | instskip(SKIP_1) | instid1(SALU_CYCLE_1)
	s_cmp_lg_u32 s0, 0
	s_add_co_ci_u32 s65, s65, s69
	s_mul_u64 s[66:67], s[66:67], s[64:65]
	s_delay_alu instid0(SALU_CYCLE_1)
	s_mul_hi_u32 s69, s64, s67
	s_mul_i32 s68, s64, s67
	s_mul_hi_u32 s2, s64, s66
	s_mul_i32 s31, s65, s66
	s_add_nc_u64 s[68:69], s[2:3], s[68:69]
	s_mul_hi_u32 s0, s65, s66
	s_mul_hi_u32 s61, s65, s67
	s_add_co_u32 s2, s68, s31
	s_add_co_ci_u32 s2, s69, s0
	s_mul_i32 s66, s65, s67
	s_add_co_ci_u32 s67, s61, 0
	s_delay_alu instid0(SALU_CYCLE_1) | instskip(NEXT) | instid1(SALU_CYCLE_1)
	s_add_nc_u64 s[66:67], s[2:3], s[66:67]
	s_add_co_u32 s0, s64, s66
	s_cselect_b32 s2, -1, 0
	v_mul_hi_u32 v30, v22, s0
	s_cmp_lg_u32 s2, 0
	s_add_co_ci_u32 s2, s65, s67
	s_and_b64 s[64:65], s[0:1], s[28:29]
	v_mul_u64_e32 v[24:25], s[2:3], v[22:23]
	v_mul_u64_e32 v[2:3], s[64:65], v[26:27]
	v_mul_u64_e32 v[28:29], s[2:3], v[26:27]
	s_delay_alu instid0(VALU_DEP_3) | instskip(NEXT) | instid1(VALU_DEP_1)
	v_add_nc_u64_e32 v[24:25], v[30:31], v[24:25]
	v_add_co_u32 v2, vcc_lo, v24, v2
	s_delay_alu instid0(VALU_DEP_2) | instskip(NEXT) | instid1(VALU_DEP_4)
	v_add_co_ci_u32_e32 v30, vcc_lo, v25, v3, vcc_lo
	v_add_co_ci_u32_e32 v29, vcc_lo, 0, v29, vcc_lo
	s_delay_alu instid0(VALU_DEP_1) | instskip(NEXT) | instid1(VALU_DEP_1)
	v_add_nc_u64_e32 v[2:3], v[30:31], v[28:29]
	v_mul_u64_e32 v[24:25], s[62:63], v[2:3]
	s_delay_alu instid0(VALU_DEP_1) | instskip(NEXT) | instid1(VALU_DEP_2)
	v_sub_nc_u32_e32 v5, v26, v25
	v_sub_co_u32 v17, vcc_lo, v22, v24
	s_delay_alu instid0(VALU_DEP_1) | instskip(NEXT) | instid1(VALU_DEP_3)
	v_sub_co_ci_u32_e64 v26, null, v26, v25, vcc_lo
	v_subrev_co_ci_u32_e64 v5, null, s63, v5, vcc_lo
	s_delay_alu instid0(VALU_DEP_3) | instskip(SKIP_1) | instid1(VALU_DEP_3)
	v_sub_co_u32 v22, s0, v17, s62
	v_add_nc_u64_e32 v[24:25], 1, v[2:3]
	v_subrev_co_ci_u32_e64 v5, null, 0, v5, s0
	s_delay_alu instid0(VALU_DEP_3) | instskip(SKIP_1) | instid1(VALU_DEP_3)
	v_cmp_le_u32_e32 vcc_lo, s62, v22
	v_cndmask_b32_e64 v22, 0, -1, vcc_lo
	v_cmp_le_u32_e32 vcc_lo, s63, v5
	v_cndmask_b32_e64 v23, 0, -1, vcc_lo
	;; [unrolled: 2-line block ×4, first 2 shown]
	v_cmp_eq_u32_e32 vcc_lo, s63, v5
	v_cndmask_b32_e32 v5, v23, v22, vcc_lo
	v_cmp_eq_u32_e32 vcc_lo, s63, v26
	v_add_nc_u64_e32 v[22:23], 2, v[2:3]
	v_cndmask_b32_e32 v17, v27, v17, vcc_lo
	s_delay_alu instid0(VALU_DEP_4) | instskip(NEXT) | instid1(VALU_DEP_3)
	v_cmp_ne_u32_e32 vcc_lo, 0, v5
	v_cndmask_b32_e32 v5, v25, v23, vcc_lo
	s_delay_alu instid0(VALU_DEP_3) | instskip(SKIP_1) | instid1(VALU_DEP_2)
	v_cmp_ne_u32_e64 s0, 0, v17
	v_dual_cndmask_b32 v17, v24, v22, vcc_lo :: v_dual_bitop2_b32 v16, s60, v16 bitop3:0x14
	v_cndmask_b32_e64 v3, v3, v5, s0
	s_delay_alu instid0(VALU_DEP_2) | instskip(NEXT) | instid1(VALU_DEP_2)
	v_dual_cndmask_b32 v2, v2, v17, s0 :: v_dual_mov_b32 v17, v16
	v_xor_b32_e32 v3, v3, v16
	s_delay_alu instid0(VALU_DEP_2) | instskip(NEXT) | instid1(VALU_DEP_1)
	v_xor_b32_e32 v2, v2, v16
	v_sub_nc_u64_e32 v[26:27], v[2:3], v[16:17]
                                        ; implicit-def: $vgpr2_vgpr3
.LBB2_28:                               ;   in Loop: Header=BB2_4 Depth=1
	s_and_not1_saveexec_b32 s0, s1
	s_cbranch_execz .LBB2_30
; %bb.29:                               ;   in Loop: Header=BB2_4 Depth=1
	v_cvt_f32_u32_e32 v3, s42
	s_sub_co_i32 s1, 0, s42
	v_mov_b32_e32 v27, v4
	s_delay_alu instid0(VALU_DEP_2) | instskip(SKIP_1) | instid1(TRANS32_DEP_1)
	v_rcp_iflag_f32_e32 v3, v3
	v_nop
	v_mul_f32_e32 v3, 0x4f7ffffe, v3
	s_delay_alu instid0(VALU_DEP_1) | instskip(NEXT) | instid1(VALU_DEP_1)
	v_cvt_u32_f32_e32 v3, v3
	v_mul_lo_u32 v5, s1, v3
	s_delay_alu instid0(VALU_DEP_1) | instskip(NEXT) | instid1(VALU_DEP_1)
	v_mul_hi_u32 v5, v3, v5
	v_add_nc_u32_e32 v3, v3, v5
	s_delay_alu instid0(VALU_DEP_1) | instskip(NEXT) | instid1(VALU_DEP_1)
	v_mul_hi_u32 v3, v2, v3
	v_mul_lo_u32 v5, v3, s42
	s_delay_alu instid0(VALU_DEP_1) | instskip(NEXT) | instid1(VALU_DEP_1)
	v_dual_sub_nc_u32 v2, v2, v5 :: v_dual_add_nc_u32 v5, 1, v3
	v_subrev_nc_u32_e32 v16, s42, v2
	v_cmp_le_u32_e32 vcc_lo, s42, v2
	s_delay_alu instid0(VALU_DEP_2) | instskip(NEXT) | instid1(VALU_DEP_1)
	v_dual_cndmask_b32 v2, v2, v16 :: v_dual_cndmask_b32 v3, v3, v5
	v_cmp_le_u32_e32 vcc_lo, s42, v2
	s_delay_alu instid0(VALU_DEP_2) | instskip(NEXT) | instid1(VALU_DEP_1)
	v_add_nc_u32_e32 v5, 1, v3
	v_cndmask_b32_e32 v26, v3, v5, vcc_lo
.LBB2_30:                               ;   in Loop: Header=BB2_4 Depth=1
	s_or_b32 exec_lo, exec_lo, s0
	v_add_nc_u64_e32 v[16:17], s[36:37], v[0:1]
	v_mov_b64_e32 v[22:23], 0
	s_mov_b32 s1, exec_lo
	s_delay_alu instid0(VALU_DEP_2)
	v_cmpx_lt_i64_e64 s[52:53], v[16:17]
	s_cbranch_execz .LBB2_36
; %bb.31:                               ;   in Loop: Header=BB2_4 Depth=1
	v_add_nc_u64_e32 v[0:1], s[56:57], v[16:17]
                                        ; implicit-def: $vgpr2_vgpr3
	s_mov_b32 s0, exec_lo
	s_delay_alu instid0(VALU_DEP_1) | instskip(NEXT) | instid1(VALU_DEP_1)
	v_or_b32_e32 v5, s41, v1
	v_cmpx_ne_u64_e32 0, v[4:5]
	s_xor_b32 s31, exec_lo, s0
	s_cbranch_execz .LBB2_33
; %bb.32:                               ;   in Loop: Header=BB2_4 Depth=1
	s_ashr_i32 s60, s41, 31
	v_dual_mov_b32 v23, v4 :: v_dual_ashrrev_i32 v2, 31, v1
	s_mov_b32 s61, s60
	v_mov_b32_e32 v33, v4
	s_add_nc_u64 s[62:63], s[40:41], s[60:61]
	s_delay_alu instid0(VALU_DEP_2) | instskip(SKIP_1) | instid1(SALU_CYCLE_1)
	v_mov_b32_e32 v3, v2
	s_xor_b64 s[62:63], s[62:63], s[60:61]
	s_cvt_f32_u32 s0, s62
	s_cvt_f32_u32 s2, s63
	s_sub_nc_u64 s[66:67], 0, s[62:63]
	v_add_nc_u64_e32 v[0:1], v[0:1], v[2:3]
	v_mov_b32_e32 v29, v4
	s_fmamk_f32 s0, s2, 0x4f800000, s0
	s_delay_alu instid0(SALU_CYCLE_3) | instskip(NEXT) | instid1(VALU_DEP_2)
	v_s_rcp_f32 s0, s0
	v_xor_b32_e32 v22, v0, v2
	s_delay_alu instid0(VALU_DEP_3) | instskip(SKIP_1) | instid1(TRANS32_DEP_1)
	v_xor_b32_e32 v28, v1, v2
	v_xor_b32_e32 v2, s60, v2
	s_mul_f32 s0, s0, 0x5f7ffffc
	s_delay_alu instid0(SALU_CYCLE_3) | instskip(NEXT) | instid1(SALU_CYCLE_3)
	s_mul_f32 s2, s0, 0x2f800000
	s_trunc_f32 s2, s2
	s_delay_alu instid0(SALU_CYCLE_3) | instskip(SKIP_1) | instid1(SALU_CYCLE_2)
	s_fmamk_f32 s0, s2, 0xcf800000, s0
	s_cvt_u32_f32 s65, s2
	s_cvt_u32_f32 s64, s0
	s_delay_alu instid0(SALU_CYCLE_3) | instskip(NEXT) | instid1(SALU_CYCLE_1)
	s_mul_u64 s[68:69], s[66:67], s[64:65]
	s_mul_hi_u32 s71, s64, s69
	s_mul_i32 s70, s64, s69
	s_mul_hi_u32 s2, s64, s68
	s_mul_i32 s61, s65, s68
	s_add_nc_u64 s[70:71], s[2:3], s[70:71]
	s_mul_hi_u32 s0, s65, s68
	s_mul_hi_u32 s72, s65, s69
	s_add_co_u32 s2, s70, s61
	s_add_co_ci_u32 s2, s71, s0
	s_mul_i32 s68, s65, s69
	s_add_co_ci_u32 s69, s72, 0
	s_delay_alu instid0(SALU_CYCLE_1) | instskip(NEXT) | instid1(SALU_CYCLE_1)
	s_add_nc_u64 s[68:69], s[2:3], s[68:69]
	s_add_co_u32 s64, s64, s68
	s_cselect_b32 s0, -1, 0
	s_delay_alu instid0(SALU_CYCLE_1) | instskip(SKIP_1) | instid1(SALU_CYCLE_1)
	s_cmp_lg_u32 s0, 0
	s_add_co_ci_u32 s65, s65, s69
	s_mul_u64 s[66:67], s[66:67], s[64:65]
	s_delay_alu instid0(SALU_CYCLE_1)
	s_mul_hi_u32 s69, s64, s67
	s_mul_i32 s68, s64, s67
	s_mul_hi_u32 s2, s64, s66
	s_mul_i32 s61, s65, s66
	s_add_nc_u64 s[68:69], s[2:3], s[68:69]
	s_mul_hi_u32 s0, s65, s66
	s_mul_hi_u32 s70, s65, s67
	s_add_co_u32 s2, s68, s61
	s_add_co_ci_u32 s2, s69, s0
	s_mul_i32 s66, s65, s67
	s_add_co_ci_u32 s67, s70, 0
	s_delay_alu instid0(SALU_CYCLE_1) | instskip(NEXT) | instid1(SALU_CYCLE_1)
	s_add_nc_u64 s[66:67], s[2:3], s[66:67]
	s_add_co_u32 s0, s64, s66
	s_cselect_b32 s2, -1, 0
	v_mul_hi_u32 v32, v22, s0
	s_cmp_lg_u32 s2, 0
	s_add_co_ci_u32 s2, s65, s67
	s_and_b64 s[64:65], s[0:1], s[28:29]
	v_mul_u64_e32 v[24:25], s[2:3], v[22:23]
	v_mul_u64_e32 v[0:1], s[64:65], v[28:29]
	;; [unrolled: 1-line block ×3, first 2 shown]
	s_delay_alu instid0(VALU_DEP_3) | instskip(NEXT) | instid1(VALU_DEP_1)
	v_add_nc_u64_e32 v[24:25], v[32:33], v[24:25]
	v_add_co_u32 v0, vcc_lo, v24, v0
	s_delay_alu instid0(VALU_DEP_2) | instskip(NEXT) | instid1(VALU_DEP_4)
	v_add_co_ci_u32_e32 v32, vcc_lo, v25, v1, vcc_lo
	v_add_co_ci_u32_e32 v31, vcc_lo, 0, v31, vcc_lo
	s_delay_alu instid0(VALU_DEP_1) | instskip(NEXT) | instid1(VALU_DEP_1)
	v_add_nc_u64_e32 v[0:1], v[32:33], v[30:31]
	v_mul_u64_e32 v[24:25], s[62:63], v[0:1]
	s_delay_alu instid0(VALU_DEP_1) | instskip(NEXT) | instid1(VALU_DEP_2)
	v_sub_nc_u32_e32 v3, v28, v25
	v_sub_co_u32 v5, vcc_lo, v22, v24
	s_delay_alu instid0(VALU_DEP_1) | instskip(NEXT) | instid1(VALU_DEP_3)
	v_sub_co_ci_u32_e64 v28, null, v28, v25, vcc_lo
	v_subrev_co_ci_u32_e64 v3, null, s63, v3, vcc_lo
	s_delay_alu instid0(VALU_DEP_3) | instskip(SKIP_1) | instid1(VALU_DEP_3)
	v_sub_co_u32 v22, s0, v5, s62
	v_add_nc_u64_e32 v[24:25], 1, v[0:1]
	v_subrev_co_ci_u32_e64 v3, null, 0, v3, s0
	s_delay_alu instid0(VALU_DEP_3) | instskip(SKIP_1) | instid1(VALU_DEP_3)
	v_cmp_le_u32_e32 vcc_lo, s62, v22
	v_cndmask_b32_e64 v22, 0, -1, vcc_lo
	v_cmp_le_u32_e32 vcc_lo, s63, v3
	v_cndmask_b32_e64 v23, 0, -1, vcc_lo
	;; [unrolled: 2-line block ×4, first 2 shown]
	v_cmp_eq_u32_e32 vcc_lo, s63, v3
	v_cndmask_b32_e32 v3, v23, v22, vcc_lo
	v_cmp_eq_u32_e32 vcc_lo, s63, v28
	v_add_nc_u64_e32 v[22:23], 2, v[0:1]
	v_cndmask_b32_e32 v5, v29, v5, vcc_lo
	s_delay_alu instid0(VALU_DEP_4) | instskip(NEXT) | instid1(VALU_DEP_2)
	v_cmp_ne_u32_e32 vcc_lo, 0, v3
	v_cmp_ne_u32_e64 s0, 0, v5
	s_delay_alu instid0(VALU_DEP_4) | instskip(NEXT) | instid1(VALU_DEP_1)
	v_dual_cndmask_b32 v3, v25, v23, vcc_lo :: v_dual_cndmask_b32 v5, v24, v22, vcc_lo
	v_dual_cndmask_b32 v1, v1, v3, s0 :: v_dual_cndmask_b32 v0, v0, v5, s0
	s_delay_alu instid0(VALU_DEP_1) | instskip(NEXT) | instid1(VALU_DEP_2)
	v_dual_mov_b32 v3, v2 :: v_dual_bitop2_b32 v1, v1, v2 bitop3:0x14
	v_xor_b32_e32 v0, v0, v2
	s_delay_alu instid0(VALU_DEP_1)
	v_sub_nc_u64_e32 v[2:3], v[0:1], v[2:3]
                                        ; implicit-def: $vgpr0_vgpr1
.LBB2_33:                               ;   in Loop: Header=BB2_4 Depth=1
	s_and_not1_saveexec_b32 s0, s31
	s_cbranch_execz .LBB2_35
; %bb.34:                               ;   in Loop: Header=BB2_4 Depth=1
	v_cvt_f32_u32_e32 v1, s40
	s_sub_co_i32 s2, 0, s40
	s_delay_alu instid0(VALU_DEP_1) | instskip(SKIP_1) | instid1(TRANS32_DEP_1)
	v_rcp_iflag_f32_e32 v1, v1
	v_nop
	v_mul_f32_e32 v1, 0x4f7ffffe, v1
	s_delay_alu instid0(VALU_DEP_1) | instskip(NEXT) | instid1(VALU_DEP_1)
	v_cvt_u32_f32_e32 v1, v1
	v_mul_lo_u32 v2, s2, v1
	s_delay_alu instid0(VALU_DEP_1) | instskip(NEXT) | instid1(VALU_DEP_1)
	v_mul_hi_u32 v2, v1, v2
	v_add_nc_u32_e32 v1, v1, v2
	s_delay_alu instid0(VALU_DEP_1) | instskip(NEXT) | instid1(VALU_DEP_1)
	v_mul_hi_u32 v1, v0, v1
	v_mul_lo_u32 v2, v1, s40
	s_delay_alu instid0(VALU_DEP_1) | instskip(NEXT) | instid1(VALU_DEP_1)
	v_dual_sub_nc_u32 v0, v0, v2 :: v_dual_add_nc_u32 v2, 1, v1
	v_subrev_nc_u32_e32 v3, s40, v0
	v_cmp_le_u32_e32 vcc_lo, s40, v0
	s_delay_alu instid0(VALU_DEP_2) | instskip(NEXT) | instid1(VALU_DEP_4)
	v_cndmask_b32_e32 v0, v0, v3, vcc_lo
	v_dual_mov_b32 v3, v4 :: v_dual_cndmask_b32 v1, v1, v2, vcc_lo
	s_delay_alu instid0(VALU_DEP_2) | instskip(NEXT) | instid1(VALU_DEP_2)
	v_cmp_le_u32_e32 vcc_lo, s40, v0
	v_add_nc_u32_e32 v2, 1, v1
	s_delay_alu instid0(VALU_DEP_1)
	v_cndmask_b32_e32 v2, v1, v2, vcc_lo
.LBB2_35:                               ;   in Loop: Header=BB2_4 Depth=1
	s_or_b32 exec_lo, exec_lo, s0
	s_delay_alu instid0(VALU_DEP_1)
	v_add_nc_u64_e32 v[22:23], 1, v[2:3]
.LBB2_36:                               ;   in Loop: Header=BB2_4 Depth=1
	s_or_b32 exec_lo, exec_lo, s1
	v_or_b32_e32 v5, s41, v17
                                        ; implicit-def: $vgpr0_vgpr1
	s_mov_b32 s0, exec_lo
	s_delay_alu instid0(VALU_DEP_1)
	v_cmpx_ne_u64_e32 0, v[4:5]
	s_xor_b32 s1, exec_lo, s0
	s_cbranch_execz .LBB2_38
; %bb.37:                               ;   in Loop: Header=BB2_4 Depth=1
	s_ashr_i32 s60, s41, 31
	v_dual_mov_b32 v25, v4 :: v_dual_ashrrev_i32 v0, 31, v17
	s_mov_b32 s61, s60
	s_delay_alu instid0(SALU_CYCLE_1) | instskip(NEXT) | instid1(VALU_DEP_1)
	s_add_nc_u64 s[62:63], s[40:41], s[60:61]
	v_mov_b32_e32 v1, v0
	s_xor_b64 s[62:63], s[62:63], s[60:61]
	s_delay_alu instid0(SALU_CYCLE_1)
	s_cvt_f32_u32 s0, s62
	s_cvt_f32_u32 s2, s63
	s_sub_nc_u64 s[66:67], 0, s[62:63]
	v_add_nc_u64_e32 v[2:3], v[16:17], v[0:1]
	v_mov_b32_e32 v31, v4
	s_fmamk_f32 s0, s2, 0x4f800000, s0
	s_delay_alu instid0(SALU_CYCLE_3) | instskip(NEXT) | instid1(VALU_DEP_2)
	v_s_rcp_f32 s0, s0
	v_xor_b32_e32 v24, v2, v0
	s_delay_alu instid0(VALU_DEP_3) | instskip(NEXT) | instid1(TRANS32_DEP_1)
	v_dual_mov_b32 v35, v4 :: v_dual_bitop2_b32 v30, v3, v0 bitop3:0x14
	s_mul_f32 s0, s0, 0x5f7ffffc
	s_delay_alu instid0(SALU_CYCLE_3) | instskip(NEXT) | instid1(SALU_CYCLE_3)
	s_mul_f32 s2, s0, 0x2f800000
	s_trunc_f32 s2, s2
	s_delay_alu instid0(SALU_CYCLE_3) | instskip(SKIP_1) | instid1(SALU_CYCLE_2)
	s_fmamk_f32 s0, s2, 0xcf800000, s0
	s_cvt_u32_f32 s65, s2
	s_cvt_u32_f32 s64, s0
	s_delay_alu instid0(SALU_CYCLE_3) | instskip(NEXT) | instid1(SALU_CYCLE_1)
	s_mul_u64 s[68:69], s[66:67], s[64:65]
	s_mul_hi_u32 s71, s64, s69
	s_mul_i32 s70, s64, s69
	s_mul_hi_u32 s2, s64, s68
	s_mul_i32 s31, s65, s68
	s_add_nc_u64 s[70:71], s[2:3], s[70:71]
	s_mul_hi_u32 s0, s65, s68
	s_mul_hi_u32 s61, s65, s69
	s_add_co_u32 s2, s70, s31
	s_add_co_ci_u32 s2, s71, s0
	s_mul_i32 s68, s65, s69
	s_add_co_ci_u32 s69, s61, 0
	s_delay_alu instid0(SALU_CYCLE_1) | instskip(NEXT) | instid1(SALU_CYCLE_1)
	s_add_nc_u64 s[68:69], s[2:3], s[68:69]
	s_add_co_u32 s64, s64, s68
	s_cselect_b32 s0, -1, 0
	s_delay_alu instid0(SALU_CYCLE_1) | instskip(SKIP_1) | instid1(SALU_CYCLE_1)
	s_cmp_lg_u32 s0, 0
	s_add_co_ci_u32 s65, s65, s69
	s_mul_u64 s[66:67], s[66:67], s[64:65]
	s_delay_alu instid0(SALU_CYCLE_1)
	s_mul_hi_u32 s69, s64, s67
	s_mul_i32 s68, s64, s67
	s_mul_hi_u32 s2, s64, s66
	s_mul_i32 s31, s65, s66
	s_add_nc_u64 s[68:69], s[2:3], s[68:69]
	s_mul_hi_u32 s0, s65, s66
	s_mul_hi_u32 s61, s65, s67
	s_add_co_u32 s2, s68, s31
	s_add_co_ci_u32 s2, s69, s0
	s_mul_i32 s66, s65, s67
	s_add_co_ci_u32 s67, s61, 0
	s_delay_alu instid0(SALU_CYCLE_1) | instskip(NEXT) | instid1(SALU_CYCLE_1)
	s_add_nc_u64 s[66:67], s[2:3], s[66:67]
	s_add_co_u32 s0, s64, s66
	s_cselect_b32 s2, -1, 0
	v_mul_hi_u32 v34, v24, s0
	s_cmp_lg_u32 s2, 0
	s_add_co_ci_u32 s2, s65, s67
	s_and_b64 s[64:65], s[0:1], s[28:29]
	v_mul_u64_e32 v[28:29], s[2:3], v[24:25]
	v_mul_u64_e32 v[2:3], s[64:65], v[30:31]
	;; [unrolled: 1-line block ×3, first 2 shown]
	s_delay_alu instid0(VALU_DEP_3) | instskip(NEXT) | instid1(VALU_DEP_1)
	v_add_nc_u64_e32 v[28:29], v[34:35], v[28:29]
	v_add_co_u32 v1, vcc_lo, v28, v2
	s_delay_alu instid0(VALU_DEP_2) | instskip(NEXT) | instid1(VALU_DEP_4)
	v_add_co_ci_u32_e32 v34, vcc_lo, v29, v3, vcc_lo
	v_add_co_ci_u32_e32 v33, vcc_lo, 0, v33, vcc_lo
	s_delay_alu instid0(VALU_DEP_1) | instskip(NEXT) | instid1(VALU_DEP_1)
	v_add_nc_u64_e32 v[2:3], v[34:35], v[32:33]
	v_mul_u64_e32 v[28:29], s[62:63], v[2:3]
	s_delay_alu instid0(VALU_DEP_1) | instskip(NEXT) | instid1(VALU_DEP_2)
	v_sub_nc_u32_e32 v1, v30, v29
	v_sub_co_u32 v5, vcc_lo, v24, v28
	s_delay_alu instid0(VALU_DEP_1) | instskip(NEXT) | instid1(VALU_DEP_3)
	v_sub_co_ci_u32_e64 v30, null, v30, v29, vcc_lo
	v_subrev_co_ci_u32_e64 v1, null, s63, v1, vcc_lo
	s_delay_alu instid0(VALU_DEP_3) | instskip(SKIP_1) | instid1(VALU_DEP_3)
	v_sub_co_u32 v24, s0, v5, s62
	v_add_nc_u64_e32 v[28:29], 1, v[2:3]
	v_subrev_co_ci_u32_e64 v1, null, 0, v1, s0
	s_delay_alu instid0(VALU_DEP_3) | instskip(SKIP_1) | instid1(VALU_DEP_3)
	v_cmp_le_u32_e32 vcc_lo, s62, v24
	v_cndmask_b32_e64 v24, 0, -1, vcc_lo
	v_cmp_le_u32_e32 vcc_lo, s63, v1
	v_cndmask_b32_e64 v25, 0, -1, vcc_lo
	;; [unrolled: 2-line block ×4, first 2 shown]
	v_cmp_eq_u32_e32 vcc_lo, s63, v1
	v_cndmask_b32_e32 v1, v25, v24, vcc_lo
	v_cmp_eq_u32_e32 vcc_lo, s63, v30
	v_add_nc_u64_e32 v[24:25], 2, v[2:3]
	v_cndmask_b32_e32 v5, v31, v5, vcc_lo
	s_delay_alu instid0(VALU_DEP_4) | instskip(NEXT) | instid1(VALU_DEP_2)
	v_cmp_ne_u32_e32 vcc_lo, 0, v1
	v_cmp_ne_u32_e64 s0, 0, v5
	s_delay_alu instid0(VALU_DEP_4) | instskip(NEXT) | instid1(VALU_DEP_1)
	v_dual_cndmask_b32 v1, v29, v25, vcc_lo :: v_dual_cndmask_b32 v5, v28, v24, vcc_lo
	v_dual_cndmask_b32 v3, v3, v1, s0 :: v_dual_bitop2_b32 v0, s60, v0 bitop3:0x14
	s_delay_alu instid0(VALU_DEP_1) | instskip(NEXT) | instid1(VALU_DEP_2)
	v_dual_cndmask_b32 v2, v2, v5, s0 :: v_dual_mov_b32 v1, v0
	v_xor_b32_e32 v3, v3, v0
	s_delay_alu instid0(VALU_DEP_2) | instskip(NEXT) | instid1(VALU_DEP_1)
	v_xor_b32_e32 v2, v2, v0
	v_sub_nc_u64_e32 v[0:1], v[2:3], v[0:1]
.LBB2_38:                               ;   in Loop: Header=BB2_4 Depth=1
	s_and_not1_saveexec_b32 s0, s1
	s_cbranch_execz .LBB2_40
; %bb.39:                               ;   in Loop: Header=BB2_4 Depth=1
	v_cvt_f32_u32_e32 v0, s40
	s_sub_co_i32 s1, 0, s40
	s_delay_alu instid0(VALU_DEP_1) | instskip(SKIP_1) | instid1(TRANS32_DEP_1)
	v_rcp_iflag_f32_e32 v0, v0
	v_nop
	v_mul_f32_e32 v0, 0x4f7ffffe, v0
	s_delay_alu instid0(VALU_DEP_1) | instskip(NEXT) | instid1(VALU_DEP_1)
	v_cvt_u32_f32_e32 v0, v0
	v_mul_lo_u32 v1, s1, v0
	s_delay_alu instid0(VALU_DEP_1) | instskip(NEXT) | instid1(VALU_DEP_1)
	v_mul_hi_u32 v1, v0, v1
	v_add_nc_u32_e32 v0, v0, v1
	s_delay_alu instid0(VALU_DEP_1) | instskip(NEXT) | instid1(VALU_DEP_1)
	v_mul_hi_u32 v0, v16, v0
	v_mul_lo_u32 v1, v0, s40
	s_delay_alu instid0(VALU_DEP_1) | instskip(NEXT) | instid1(VALU_DEP_1)
	v_dual_add_nc_u32 v2, 1, v0 :: v_dual_sub_nc_u32 v1, v16, v1
	v_subrev_nc_u32_e32 v3, s40, v1
	v_cmp_le_u32_e32 vcc_lo, s40, v1
	s_delay_alu instid0(VALU_DEP_2) | instskip(NEXT) | instid1(VALU_DEP_1)
	v_dual_cndmask_b32 v1, v1, v3 :: v_dual_cndmask_b32 v0, v0, v2
	v_cmp_le_u32_e32 vcc_lo, s40, v1
	s_delay_alu instid0(VALU_DEP_2) | instskip(NEXT) | instid1(VALU_DEP_1)
	v_dual_mov_b32 v1, v4 :: v_dual_add_nc_u32 v2, 1, v0
	v_cndmask_b32_e32 v0, v0, v2, vcc_lo
.LBB2_40:                               ;   in Loop: Header=BB2_4 Depth=1
	s_or_b32 exec_lo, exec_lo, s0
	s_delay_alu instid0(VALU_DEP_1) | instskip(SKIP_2) | instid1(VALU_DEP_2)
	v_add_nc_u64_e32 v[0:1], 1, v[0:1]
	v_mov_b64_e32 v[2:3], 0
	s_mov_b32 s31, exec_lo
	v_min_i64 v[24:25], v[0:1], s[48:49]
	v_mov_b64_e32 v[0:1], 0
	s_delay_alu instid0(VALU_DEP_2)
	v_cmpx_lt_i64_e64 v[22:23], v[24:25]
	s_cbranch_execz .LBB2_3
; %bb.41:                               ;   in Loop: Header=BB2_4 Depth=1
	v_mul_u64_e32 v[0:1], s[42:43], v[14:15]
	v_lshlrev_b64_e32 v[28:29], 4, v[14:15]
	v_add_nc_u64_e32 v[2:3], 1, v[26:27]
	v_mul_u64_e32 v[18:19], s[16:17], v[18:19]
	s_mov_b32 s64, 0
	s_delay_alu instid0(VALU_DEP_3) | instskip(NEXT) | instid1(VALU_DEP_3)
	v_mad_nc_u64_u32 v[28:29], s8, v8, v[28:29]
	v_min_i64 v[26:27], v[2:3], s[50:51]
	v_add_nc_u64_e32 v[2:3], s[38:39], v[6:7]
	s_delay_alu instid0(VALU_DEP_3) | instskip(NEXT) | instid1(VALU_DEP_1)
	v_mad_u32 v5, s9, v8, v29
	v_mad_u32 v29, s8, v9, v5
	s_delay_alu instid0(VALU_DEP_3) | instskip(SKIP_1) | instid1(VALU_DEP_2)
	v_sub_nc_u64_e32 v[0:1], v[2:3], v[0:1]
	v_mov_b64_e32 v[2:3], 0
	v_sub_nc_u64_e32 v[0:1], v[0:1], v[20:21]
	v_cmp_lt_i64_e64 s0, v[14:15], v[26:27]
	v_add_nc_u64_e32 v[20:21], s[6:7], v[28:29]
	s_delay_alu instid0(VALU_DEP_3)
	v_sub_nc_u64_e32 v[12:13], v[0:1], v[12:13]
	v_mov_b64_e32 v[0:1], v[2:3]
	s_branch .LBB2_44
.LBB2_42:                               ;   in Loop: Header=BB2_44 Depth=2
	s_or_b32 exec_lo, exec_lo, s66
.LBB2_43:                               ;   in Loop: Header=BB2_44 Depth=2
	s_delay_alu instid0(SALU_CYCLE_1) | instskip(SKIP_1) | instid1(VALU_DEP_1)
	s_or_b32 exec_lo, exec_lo, s65
	v_add_nc_u64_e32 v[22:23], 1, v[22:23]
	v_cmp_ge_i64_e32 vcc_lo, v[22:23], v[24:25]
	s_or_b32 s64, vcc_lo, s64
	s_delay_alu instid0(SALU_CYCLE_1)
	s_and_not1_b32 exec_lo, exec_lo, s64
	s_cbranch_execz .LBB2_2
.LBB2_44:                               ;   Parent Loop BB2_4 Depth=1
                                        ; =>  This Loop Header: Depth=2
                                        ;       Child Loop BB2_52 Depth 3
	s_delay_alu instid0(VALU_DEP_4)
	s_and_saveexec_b32 s65, s0
	s_cbranch_execz .LBB2_43
; %bb.45:                               ;   in Loop: Header=BB2_44 Depth=2
	v_mul_u64_e32 v[28:29], s[40:41], v[22:23]
	s_mov_b32 s1, exec_lo
	s_delay_alu instid0(VALU_DEP_1) | instskip(NEXT) | instid1(VALU_DEP_1)
	v_sub_nc_u64_e32 v[30:31], v[16:17], v[28:29]
                                        ; implicit-def: $vgpr28_vgpr29
	v_or_b32_e32 v5, s45, v31
	s_delay_alu instid0(VALU_DEP_1)
	v_cmpx_ne_u64_e32 0, v[4:5]
	s_xor_b32 s66, exec_lo, s1
	s_cbranch_execz .LBB2_47
; %bb.46:                               ;   in Loop: Header=BB2_44 Depth=2
	s_ashr_i32 s60, s45, 31
	v_dual_mov_b32 v35, v4 :: v_dual_ashrrev_i32 v28, 31, v31
	s_mov_b32 s61, s60
	v_mov_b32_e32 v41, v4
	s_add_nc_u64 s[62:63], s[44:45], s[60:61]
	s_delay_alu instid0(VALU_DEP_2)
	v_mov_b32_e32 v29, v28
	s_xor_b64 s[62:63], s[62:63], s[60:61]
	v_mov_b32_e32 v45, v4
	s_cvt_f32_u32 s1, s62
	s_cvt_f32_u32 s2, s63
	s_sub_nc_u64 s[70:71], 0, s[62:63]
	v_add_nc_u64_e32 v[32:33], v[30:31], v[28:29]
	s_delay_alu instid0(SALU_CYCLE_1) | instskip(NEXT) | instid1(SALU_CYCLE_3)
	s_fmamk_f32 s1, s2, 0x4f800000, s1
	v_s_rcp_f32 s1, s1
	s_delay_alu instid0(VALU_DEP_1) | instskip(NEXT) | instid1(VALU_DEP_2)
	v_xor_b32_e32 v34, v32, v28
	v_xor_b32_e32 v40, v33, v28
	;; [unrolled: 1-line block ×3, first 2 shown]
	s_delay_alu instid0(TRANS32_DEP_1) | instskip(NEXT) | instid1(SALU_CYCLE_3)
	s_mul_f32 s1, s1, 0x5f7ffffc
	s_mul_f32 s2, s1, 0x2f800000
	s_delay_alu instid0(SALU_CYCLE_3) | instskip(NEXT) | instid1(SALU_CYCLE_3)
	s_trunc_f32 s2, s2
	s_fmamk_f32 s1, s2, 0xcf800000, s1
	s_cvt_u32_f32 s69, s2
	s_delay_alu instid0(SALU_CYCLE_2) | instskip(NEXT) | instid1(SALU_CYCLE_3)
	s_cvt_u32_f32 s68, s1
	s_mul_u64 s[72:73], s[70:71], s[68:69]
	s_delay_alu instid0(SALU_CYCLE_1)
	s_mul_hi_u32 s75, s68, s73
	s_mul_i32 s74, s68, s73
	s_mul_hi_u32 s2, s68, s72
	s_mul_i32 s61, s69, s72
	s_add_nc_u64 s[74:75], s[2:3], s[74:75]
	s_mul_hi_u32 s1, s69, s72
	s_mul_hi_u32 s67, s69, s73
	s_add_co_u32 s2, s74, s61
	s_add_co_ci_u32 s2, s75, s1
	s_mul_i32 s72, s69, s73
	s_add_co_ci_u32 s73, s67, 0
	s_delay_alu instid0(SALU_CYCLE_1) | instskip(NEXT) | instid1(SALU_CYCLE_1)
	s_add_nc_u64 s[72:73], s[2:3], s[72:73]
	s_add_co_u32 s68, s68, s72
	s_cselect_b32 s1, -1, 0
	s_delay_alu instid0(SALU_CYCLE_1) | instskip(SKIP_1) | instid1(SALU_CYCLE_1)
	s_cmp_lg_u32 s1, 0
	s_add_co_ci_u32 s69, s69, s73
	s_mul_u64 s[70:71], s[70:71], s[68:69]
	s_delay_alu instid0(SALU_CYCLE_1)
	s_mul_hi_u32 s73, s68, s71
	s_mul_i32 s72, s68, s71
	s_mul_hi_u32 s2, s68, s70
	s_mul_i32 s61, s69, s70
	s_add_nc_u64 s[72:73], s[2:3], s[72:73]
	s_mul_hi_u32 s1, s69, s70
	s_mul_hi_u32 s67, s69, s71
	s_add_co_u32 s2, s72, s61
	s_add_co_ci_u32 s2, s73, s1
	s_mul_i32 s70, s69, s71
	s_add_co_ci_u32 s71, s67, 0
	s_delay_alu instid0(SALU_CYCLE_1) | instskip(NEXT) | instid1(SALU_CYCLE_1)
	s_add_nc_u64 s[70:71], s[2:3], s[70:71]
	s_add_co_u32 s68, s68, s70
	s_cselect_b32 s1, -1, 0
	v_mul_hi_u32 v44, v34, s68
	s_cmp_lg_u32 s1, 0
	s_add_co_ci_u32 s2, s69, s71
	s_and_b64 s[70:71], s[68:69], s[28:29]
	v_mul_u64_e32 v[36:37], s[2:3], v[34:35]
	v_mul_u64_e32 v[32:33], s[70:71], v[40:41]
	;; [unrolled: 1-line block ×3, first 2 shown]
	s_delay_alu instid0(VALU_DEP_3) | instskip(NEXT) | instid1(VALU_DEP_1)
	v_add_nc_u64_e32 v[36:37], v[44:45], v[36:37]
	v_add_co_u32 v5, vcc_lo, v36, v32
	s_delay_alu instid0(VALU_DEP_2) | instskip(NEXT) | instid1(VALU_DEP_4)
	v_add_co_ci_u32_e32 v44, vcc_lo, v37, v33, vcc_lo
	v_add_co_ci_u32_e32 v43, vcc_lo, 0, v43, vcc_lo
	s_delay_alu instid0(VALU_DEP_1) | instskip(NEXT) | instid1(VALU_DEP_1)
	v_add_nc_u64_e32 v[32:33], v[44:45], v[42:43]
	v_mul_u64_e32 v[36:37], s[62:63], v[32:33]
	s_delay_alu instid0(VALU_DEP_1) | instskip(NEXT) | instid1(VALU_DEP_2)
	v_sub_nc_u32_e32 v5, v40, v37
	v_sub_co_u32 v29, vcc_lo, v34, v36
	s_delay_alu instid0(VALU_DEP_1) | instskip(NEXT) | instid1(VALU_DEP_3)
	v_sub_co_ci_u32_e64 v39, null, v40, v37, vcc_lo
	v_subrev_co_ci_u32_e64 v5, null, s63, v5, vcc_lo
	s_delay_alu instid0(VALU_DEP_3) | instskip(SKIP_1) | instid1(VALU_DEP_3)
	v_sub_co_u32 v34, s1, v29, s62
	v_add_nc_u64_e32 v[36:37], 1, v[32:33]
	v_subrev_co_ci_u32_e64 v5, null, 0, v5, s1
	s_delay_alu instid0(VALU_DEP_3) | instskip(SKIP_1) | instid1(VALU_DEP_3)
	v_cmp_le_u32_e32 vcc_lo, s62, v34
	v_cndmask_b32_e64 v34, 0, -1, vcc_lo
	v_cmp_le_u32_e32 vcc_lo, s63, v5
	v_cndmask_b32_e64 v35, 0, -1, vcc_lo
	;; [unrolled: 2-line block ×4, first 2 shown]
	v_cmp_eq_u32_e32 vcc_lo, s63, v5
	v_cndmask_b32_e32 v5, v35, v34, vcc_lo
	v_cmp_eq_u32_e32 vcc_lo, s63, v39
	v_add_nc_u64_e32 v[34:35], 2, v[32:33]
	v_cndmask_b32_e32 v29, v40, v29, vcc_lo
	s_delay_alu instid0(VALU_DEP_4) | instskip(NEXT) | instid1(VALU_DEP_2)
	v_cmp_ne_u32_e32 vcc_lo, 0, v5
	v_cmp_ne_u32_e64 s1, 0, v29
	s_delay_alu instid0(VALU_DEP_4) | instskip(NEXT) | instid1(VALU_DEP_1)
	v_dual_cndmask_b32 v5, v37, v35, vcc_lo :: v_dual_cndmask_b32 v29, v36, v34, vcc_lo
	v_cndmask_b32_e64 v5, v33, v5, s1
	s_delay_alu instid0(VALU_DEP_2) | instskip(NEXT) | instid1(VALU_DEP_2)
	v_cndmask_b32_e64 v32, v32, v29, s1
	v_dual_mov_b32 v29, v28 :: v_dual_bitop2_b32 v33, v5, v28 bitop3:0x14
	s_delay_alu instid0(VALU_DEP_2) | instskip(NEXT) | instid1(VALU_DEP_1)
	v_xor_b32_e32 v32, v32, v28
	v_sub_nc_u64_e32 v[28:29], v[32:33], v[28:29]
.LBB2_47:                               ;   in Loop: Header=BB2_44 Depth=2
	s_and_not1_saveexec_b32 s1, s66
	s_cbranch_execz .LBB2_49
; %bb.48:                               ;   in Loop: Header=BB2_44 Depth=2
	v_cvt_f32_u32_e32 v5, s44
	s_sub_co_i32 s2, 0, s44
	s_delay_alu instid0(VALU_DEP_1) | instskip(SKIP_1) | instid1(TRANS32_DEP_1)
	v_rcp_iflag_f32_e32 v5, v5
	v_nop
	v_mul_f32_e32 v5, 0x4f7ffffe, v5
	s_delay_alu instid0(VALU_DEP_1) | instskip(NEXT) | instid1(VALU_DEP_1)
	v_cvt_u32_f32_e32 v5, v5
	v_mul_lo_u32 v28, s2, v5
	s_delay_alu instid0(VALU_DEP_1) | instskip(NEXT) | instid1(VALU_DEP_1)
	v_mul_hi_u32 v28, v5, v28
	v_add_nc_u32_e32 v5, v5, v28
	s_delay_alu instid0(VALU_DEP_1) | instskip(NEXT) | instid1(VALU_DEP_1)
	v_mul_hi_u32 v5, v30, v5
	v_mul_lo_u32 v28, v5, s44
	s_delay_alu instid0(VALU_DEP_1) | instskip(NEXT) | instid1(VALU_DEP_1)
	v_sub_nc_u32_e32 v28, v30, v28
	v_subrev_nc_u32_e32 v32, s44, v28
	v_cmp_le_u32_e32 vcc_lo, s44, v28
	s_delay_alu instid0(VALU_DEP_2) | instskip(NEXT) | instid1(VALU_DEP_1)
	v_dual_cndmask_b32 v28, v28, v32 :: v_dual_add_nc_u32 v29, 1, v5
	v_cndmask_b32_e32 v5, v5, v29, vcc_lo
	s_delay_alu instid0(VALU_DEP_2) | instskip(NEXT) | instid1(VALU_DEP_2)
	v_cmp_le_u32_e32 vcc_lo, s44, v28
	v_add_nc_u32_e32 v29, 1, v5
	s_delay_alu instid0(VALU_DEP_1)
	v_dual_cndmask_b32 v28, v5, v29 :: v_dual_mov_b32 v29, v4
.LBB2_49:                               ;   in Loop: Header=BB2_44 Depth=2
	s_or_b32 exec_lo, exec_lo, s1
	s_delay_alu instid0(VALU_DEP_1) | instskip(SKIP_3) | instid1(VALU_DEP_2)
	v_mul_u64_e32 v[32:33], s[44:45], v[28:29]
	v_add_nc_u64_e32 v[28:29], v[28:29], v[18:19]
	v_mov_b64_e32 v[34:35], v[14:15]
	s_mov_b32 s66, 0
	v_mul_u64_e32 v[28:29], s[18:19], v[28:29]
	s_delay_alu instid0(VALU_DEP_4) | instskip(SKIP_1) | instid1(VALU_DEP_2)
	v_sub_nc_u64_e32 v[30:31], v[30:31], v[32:33]
	v_mov_b64_e32 v[32:33], v[20:21]
	v_cmp_eq_u64_e64 s1, 0, v[30:31]
	v_mov_b64_e32 v[30:31], v[12:13]
	s_branch .LBB2_52
.LBB2_50:                               ;   in Loop: Header=BB2_52 Depth=3
	s_wait_xcnt 0x0
	s_or_b32 exec_lo, exec_lo, s2
.LBB2_51:                               ;   in Loop: Header=BB2_52 Depth=3
	s_delay_alu instid0(SALU_CYCLE_1) | instskip(SKIP_3) | instid1(VALU_DEP_3)
	s_or_b32 exec_lo, exec_lo, s67
	v_add_nc_u64_e32 v[34:35], 1, v[34:35]
	v_add_nc_u64_e32 v[32:33], 16, v[32:33]
	v_sub_nc_u64_e64 v[30:31], v[30:31], s[42:43]
	v_cmp_ge_i64_e32 vcc_lo, v[34:35], v[26:27]
	s_or_b32 s66, vcc_lo, s66
	s_delay_alu instid0(SALU_CYCLE_1)
	s_and_not1_b32 exec_lo, exec_lo, s66
	s_cbranch_execz .LBB2_42
.LBB2_52:                               ;   Parent Loop BB2_4 Depth=1
                                        ;     Parent Loop BB2_44 Depth=2
                                        ; =>    This Inner Loop Header: Depth=3
	s_delay_alu instid0(VALU_DEP_2)
	s_and_saveexec_b32 s67, s1
	s_cbranch_execz .LBB2_51
; %bb.53:                               ;   in Loop: Header=BB2_52 Depth=3
	s_delay_alu instid0(VALU_DEP_1) | instskip(SKIP_1) | instid1(VALU_DEP_1)
	v_or_b32_e32 v5, s47, v31
                                        ; implicit-def: $vgpr36_vgpr37
	s_mov_b32 s2, exec_lo
	v_cmpx_ne_u64_e32 0, v[4:5]
	s_xor_b32 s68, exec_lo, s2
	s_cbranch_execz .LBB2_55
; %bb.54:                               ;   in Loop: Header=BB2_52 Depth=3
	s_ashr_i32 s60, s47, 31
	v_dual_mov_b32 v43, v4 :: v_dual_ashrrev_i32 v36, 31, v31
	s_mov_b32 s61, s60
	v_mov_b32_e32 v47, v4
	s_add_nc_u64 s[62:63], s[46:47], s[60:61]
	s_delay_alu instid0(VALU_DEP_2)
	v_mov_b32_e32 v37, v36
	s_xor_b64 s[62:63], s[62:63], s[60:61]
	v_mov_b32_e32 v51, v4
	s_cvt_f32_u32 s2, s62
	s_cvt_f32_u32 s61, s63
	s_sub_nc_u64 s[72:73], 0, s[62:63]
	v_add_nc_u64_e32 v[40:41], v[30:31], v[36:37]
	s_delay_alu instid0(SALU_CYCLE_1) | instskip(NEXT) | instid1(SALU_CYCLE_3)
	s_fmamk_f32 s2, s61, 0x4f800000, s2
	v_s_rcp_f32 s2, s2
	s_delay_alu instid0(VALU_DEP_1) | instskip(NEXT) | instid1(VALU_DEP_2)
	v_xor_b32_e32 v46, v41, v36
	v_xor_b32_e32 v42, v40, v36
	s_delay_alu instid0(TRANS32_DEP_1) | instskip(NEXT) | instid1(SALU_CYCLE_3)
	s_mul_f32 s2, s2, 0x5f7ffffc
	s_mul_f32 s61, s2, 0x2f800000
	s_delay_alu instid0(SALU_CYCLE_3) | instskip(NEXT) | instid1(SALU_CYCLE_3)
	s_trunc_f32 s61, s61
	s_fmamk_f32 s2, s61, 0xcf800000, s2
	s_cvt_u32_f32 s71, s61
	s_delay_alu instid0(SALU_CYCLE_2) | instskip(NEXT) | instid1(SALU_CYCLE_3)
	s_cvt_u32_f32 s70, s2
	s_mul_u64 s[74:75], s[72:73], s[70:71]
	s_delay_alu instid0(SALU_CYCLE_1)
	s_mul_hi_u32 s77, s70, s75
	s_mul_i32 s76, s70, s75
	s_mul_hi_u32 s2, s70, s74
	s_mul_i32 s69, s71, s74
	s_add_nc_u64 s[76:77], s[2:3], s[76:77]
	s_mul_hi_u32 s61, s71, s74
	s_mul_hi_u32 s78, s71, s75
	s_add_co_u32 s2, s76, s69
	s_add_co_ci_u32 s2, s77, s61
	s_mul_i32 s74, s71, s75
	s_add_co_ci_u32 s75, s78, 0
	s_delay_alu instid0(SALU_CYCLE_1) | instskip(NEXT) | instid1(SALU_CYCLE_1)
	s_add_nc_u64 s[74:75], s[2:3], s[74:75]
	s_add_co_u32 s70, s70, s74
	s_cselect_b32 s2, -1, 0
	s_delay_alu instid0(SALU_CYCLE_1) | instskip(SKIP_1) | instid1(SALU_CYCLE_1)
	s_cmp_lg_u32 s2, 0
	s_add_co_ci_u32 s71, s71, s75
	s_mul_u64 s[72:73], s[72:73], s[70:71]
	s_delay_alu instid0(SALU_CYCLE_1)
	s_mul_hi_u32 s75, s70, s73
	s_mul_i32 s74, s70, s73
	s_mul_hi_u32 s2, s70, s72
	s_mul_i32 s69, s71, s72
	s_add_nc_u64 s[74:75], s[2:3], s[74:75]
	s_mul_hi_u32 s61, s71, s72
	s_mul_hi_u32 s76, s71, s73
	s_add_co_u32 s2, s74, s69
	s_add_co_ci_u32 s2, s75, s61
	s_mul_i32 s72, s71, s73
	s_add_co_ci_u32 s73, s76, 0
	s_delay_alu instid0(SALU_CYCLE_1) | instskip(NEXT) | instid1(SALU_CYCLE_1)
	s_add_nc_u64 s[72:73], s[2:3], s[72:73]
	s_add_co_u32 s70, s70, s72
	s_cselect_b32 s2, -1, 0
	v_mul_hi_u32 v50, v42, s70
	s_cmp_lg_u32 s2, 0
	s_add_co_ci_u32 s2, s71, s73
	s_and_b64 s[72:73], s[70:71], s[28:29]
	v_mul_u64_e32 v[44:45], s[2:3], v[42:43]
	v_mul_u64_e32 v[40:41], s[72:73], v[46:47]
	;; [unrolled: 1-line block ×3, first 2 shown]
	s_delay_alu instid0(VALU_DEP_3) | instskip(NEXT) | instid1(VALU_DEP_1)
	v_add_nc_u64_e32 v[44:45], v[50:51], v[44:45]
	v_add_co_u32 v5, vcc_lo, v44, v40
	s_delay_alu instid0(VALU_DEP_2) | instskip(NEXT) | instid1(VALU_DEP_4)
	v_add_co_ci_u32_e32 v50, vcc_lo, v45, v41, vcc_lo
	v_add_co_ci_u32_e32 v49, vcc_lo, 0, v49, vcc_lo
	s_delay_alu instid0(VALU_DEP_1) | instskip(NEXT) | instid1(VALU_DEP_1)
	v_add_nc_u64_e32 v[40:41], v[50:51], v[48:49]
	v_mul_u64_e32 v[44:45], s[62:63], v[40:41]
	s_delay_alu instid0(VALU_DEP_1) | instskip(NEXT) | instid1(VALU_DEP_2)
	v_sub_nc_u32_e32 v5, v46, v45
	v_sub_co_u32 v37, vcc_lo, v42, v44
	s_delay_alu instid0(VALU_DEP_1) | instskip(NEXT) | instid1(VALU_DEP_3)
	v_sub_co_ci_u32_e64 v46, null, v46, v45, vcc_lo
	v_subrev_co_ci_u32_e64 v5, null, s63, v5, vcc_lo
	s_delay_alu instid0(VALU_DEP_3) | instskip(SKIP_1) | instid1(VALU_DEP_3)
	v_sub_co_u32 v39, s2, v37, s62
	v_add_nc_u64_e32 v[44:45], 1, v[40:41]
	v_subrev_co_ci_u32_e64 v5, null, 0, v5, s2
	s_delay_alu instid0(VALU_DEP_3) | instskip(SKIP_1) | instid1(VALU_DEP_3)
	v_cmp_le_u32_e32 vcc_lo, s62, v39
	v_cndmask_b32_e64 v39, 0, -1, vcc_lo
	v_cmp_le_u32_e32 vcc_lo, s63, v5
	v_cndmask_b32_e64 v42, 0, -1, vcc_lo
	;; [unrolled: 2-line block ×4, first 2 shown]
	v_cmp_eq_u32_e32 vcc_lo, s63, v5
	v_cndmask_b32_e32 v5, v42, v39, vcc_lo
	v_cmp_eq_u32_e32 vcc_lo, s63, v46
	v_add_nc_u64_e32 v[42:43], 2, v[40:41]
	v_cndmask_b32_e32 v37, v47, v37, vcc_lo
	s_delay_alu instid0(VALU_DEP_4) | instskip(NEXT) | instid1(VALU_DEP_2)
	v_cmp_ne_u32_e32 vcc_lo, 0, v5
	v_cmp_ne_u32_e64 s2, 0, v37
	s_delay_alu instid0(VALU_DEP_4) | instskip(NEXT) | instid1(VALU_DEP_1)
	v_dual_cndmask_b32 v5, v45, v43, vcc_lo :: v_dual_cndmask_b32 v37, v44, v42, vcc_lo
	v_dual_cndmask_b32 v5, v41, v5, s2 :: v_dual_bitop2_b32 v36, s60, v36 bitop3:0x14
	s_delay_alu instid0(VALU_DEP_1) | instskip(NEXT) | instid1(VALU_DEP_1)
	v_dual_cndmask_b32 v39, v40, v37, s2 :: v_dual_bitop2_b32 v41, v5, v36 bitop3:0x14
	v_dual_mov_b32 v37, v36 :: v_dual_bitop2_b32 v40, v39, v36 bitop3:0x14
	s_delay_alu instid0(VALU_DEP_1)
	v_sub_nc_u64_e32 v[36:37], v[40:41], v[36:37]
.LBB2_55:                               ;   in Loop: Header=BB2_52 Depth=3
	s_and_not1_saveexec_b32 s2, s68
	s_cbranch_execz .LBB2_57
; %bb.56:                               ;   in Loop: Header=BB2_52 Depth=3
	v_cvt_f32_u32_e32 v5, s46
	s_sub_co_i32 s60, 0, s46
	s_delay_alu instid0(VALU_DEP_1) | instskip(SKIP_1) | instid1(TRANS32_DEP_1)
	v_rcp_iflag_f32_e32 v5, v5
	v_nop
	v_mul_f32_e32 v5, 0x4f7ffffe, v5
	s_delay_alu instid0(VALU_DEP_1) | instskip(NEXT) | instid1(VALU_DEP_1)
	v_cvt_u32_f32_e32 v5, v5
	v_mul_lo_u32 v36, s60, v5
	s_delay_alu instid0(VALU_DEP_1) | instskip(NEXT) | instid1(VALU_DEP_1)
	v_mul_hi_u32 v36, v5, v36
	v_add_nc_u32_e32 v5, v5, v36
	s_delay_alu instid0(VALU_DEP_1) | instskip(NEXT) | instid1(VALU_DEP_1)
	v_mul_hi_u32 v5, v30, v5
	v_mul_lo_u32 v36, v5, s46
	s_delay_alu instid0(VALU_DEP_1) | instskip(NEXT) | instid1(VALU_DEP_1)
	v_dual_add_nc_u32 v37, 1, v5 :: v_dual_sub_nc_u32 v36, v30, v36
	v_subrev_nc_u32_e32 v39, s46, v36
	v_cmp_le_u32_e32 vcc_lo, s46, v36
	s_delay_alu instid0(VALU_DEP_2) | instskip(NEXT) | instid1(VALU_DEP_1)
	v_dual_cndmask_b32 v36, v36, v39 :: v_dual_cndmask_b32 v5, v5, v37
	v_cmp_le_u32_e32 vcc_lo, s46, v36
	s_delay_alu instid0(VALU_DEP_2) | instskip(NEXT) | instid1(VALU_DEP_1)
	v_add_nc_u32_e32 v37, 1, v5
	v_dual_cndmask_b32 v36, v5, v37 :: v_dual_mov_b32 v37, v4
.LBB2_57:                               ;   in Loop: Header=BB2_52 Depth=3
	s_or_b32 exec_lo, exec_lo, s2
	s_delay_alu instid0(VALU_DEP_1) | instskip(SKIP_1) | instid1(VALU_DEP_1)
	v_mul_u64_e32 v[40:41], s[46:47], v[36:37]
	s_mov_b32 s2, exec_lo
	v_sub_nc_u64_e32 v[40:41], v[30:31], v[40:41]
	s_delay_alu instid0(VALU_DEP_1)
	v_cmpx_eq_u64_e32 0, v[40:41]
	s_cbranch_execz .LBB2_50
; %bb.58:                               ;   in Loop: Header=BB2_52 Depth=3
	v_add_nc_u64_e32 v[36:37], v[28:29], v[36:37]
	s_delay_alu instid0(VALU_DEP_1) | instskip(NEXT) | instid1(VALU_DEP_1)
	v_mad_nc_u64_u32 v[40:41], v36, s48, v[22:23]
	v_mad_u32 v5, v37, s48, v41
	s_delay_alu instid0(VALU_DEP_2) | instskip(NEXT) | instid1(VALU_DEP_2)
	v_mad_nc_u64_u32 v[42:43], s54, v40, v[32:33]
	v_mad_u32 v5, v36, s49, v5
	s_delay_alu instid0(VALU_DEP_2) | instskip(NEXT) | instid1(VALU_DEP_1)
	v_mad_u32 v36, s55, v40, v43
	v_mad_u32 v43, s54, v5, v36
	global_load_b128 v[40:43], v[42:43], off
	s_wait_loadcnt 0x0
	v_add_f64_e32 v[0:1], v[0:1], v[40:41]
	v_add_f64_e32 v[2:3], v[2:3], v[42:43]
	s_branch .LBB2_50
.LBB2_59:
	s_endpgm
	.section	.rodata,"a",@progbits
	.p2align	6, 0x0
	.amdhsa_kernel _ZN2at6native21col2im_batched_kernelIN3c107complexIdEEEEvlPKT_llllllllllllllPS5_l
		.amdhsa_group_segment_fixed_size 0
		.amdhsa_private_segment_fixed_size 0
		.amdhsa_kernarg_size 400
		.amdhsa_user_sgpr_count 2
		.amdhsa_user_sgpr_dispatch_ptr 0
		.amdhsa_user_sgpr_queue_ptr 0
		.amdhsa_user_sgpr_kernarg_segment_ptr 1
		.amdhsa_user_sgpr_dispatch_id 0
		.amdhsa_user_sgpr_kernarg_preload_length 0
		.amdhsa_user_sgpr_kernarg_preload_offset 0
		.amdhsa_user_sgpr_private_segment_size 0
		.amdhsa_wavefront_size32 1
		.amdhsa_uses_dynamic_stack 0
		.amdhsa_enable_private_segment 0
		.amdhsa_system_sgpr_workgroup_id_x 1
		.amdhsa_system_sgpr_workgroup_id_y 0
		.amdhsa_system_sgpr_workgroup_id_z 0
		.amdhsa_system_sgpr_workgroup_info 0
		.amdhsa_system_vgpr_workitem_id 0
		.amdhsa_next_free_vgpr 52
		.amdhsa_next_free_sgpr 79
		.amdhsa_named_barrier_count 0
		.amdhsa_reserve_vcc 1
		.amdhsa_float_round_mode_32 0
		.amdhsa_float_round_mode_16_64 0
		.amdhsa_float_denorm_mode_32 3
		.amdhsa_float_denorm_mode_16_64 3
		.amdhsa_fp16_overflow 0
		.amdhsa_memory_ordered 1
		.amdhsa_forward_progress 1
		.amdhsa_inst_pref_size 65
		.amdhsa_round_robin_scheduling 0
		.amdhsa_exception_fp_ieee_invalid_op 0
		.amdhsa_exception_fp_denorm_src 0
		.amdhsa_exception_fp_ieee_div_zero 0
		.amdhsa_exception_fp_ieee_overflow 0
		.amdhsa_exception_fp_ieee_underflow 0
		.amdhsa_exception_fp_ieee_inexact 0
		.amdhsa_exception_int_div_zero 0
	.end_amdhsa_kernel
	.section	.text._ZN2at6native21col2im_batched_kernelIN3c107complexIdEEEEvlPKT_llllllllllllllPS5_l,"axG",@progbits,_ZN2at6native21col2im_batched_kernelIN3c107complexIdEEEEvlPKT_llllllllllllllPS5_l,comdat
.Lfunc_end2:
	.size	_ZN2at6native21col2im_batched_kernelIN3c107complexIdEEEEvlPKT_llllllllllllllPS5_l, .Lfunc_end2-_ZN2at6native21col2im_batched_kernelIN3c107complexIdEEEEvlPKT_llllllllllllllPS5_l
                                        ; -- End function
	.set _ZN2at6native21col2im_batched_kernelIN3c107complexIdEEEEvlPKT_llllllllllllllPS5_l.num_vgpr, 52
	.set _ZN2at6native21col2im_batched_kernelIN3c107complexIdEEEEvlPKT_llllllllllllllPS5_l.num_agpr, 0
	.set _ZN2at6native21col2im_batched_kernelIN3c107complexIdEEEEvlPKT_llllllllllllllPS5_l.numbered_sgpr, 79
	.set _ZN2at6native21col2im_batched_kernelIN3c107complexIdEEEEvlPKT_llllllllllllllPS5_l.num_named_barrier, 0
	.set _ZN2at6native21col2im_batched_kernelIN3c107complexIdEEEEvlPKT_llllllllllllllPS5_l.private_seg_size, 0
	.set _ZN2at6native21col2im_batched_kernelIN3c107complexIdEEEEvlPKT_llllllllllllllPS5_l.uses_vcc, 1
	.set _ZN2at6native21col2im_batched_kernelIN3c107complexIdEEEEvlPKT_llllllllllllllPS5_l.uses_flat_scratch, 0
	.set _ZN2at6native21col2im_batched_kernelIN3c107complexIdEEEEvlPKT_llllllllllllllPS5_l.has_dyn_sized_stack, 0
	.set _ZN2at6native21col2im_batched_kernelIN3c107complexIdEEEEvlPKT_llllllllllllllPS5_l.has_recursion, 0
	.set _ZN2at6native21col2im_batched_kernelIN3c107complexIdEEEEvlPKT_llllllllllllllPS5_l.has_indirect_call, 0
	.section	.AMDGPU.csdata,"",@progbits
; Kernel info:
; codeLenInByte = 8252
; TotalNumSgprs: 81
; NumVgprs: 52
; ScratchSize: 0
; MemoryBound: 0
; FloatMode: 240
; IeeeMode: 1
; LDSByteSize: 0 bytes/workgroup (compile time only)
; SGPRBlocks: 0
; VGPRBlocks: 3
; NumSGPRsForWavesPerEU: 81
; NumVGPRsForWavesPerEU: 52
; NamedBarCnt: 0
; Occupancy: 16
; WaveLimiterHint : 0
; COMPUTE_PGM_RSRC2:SCRATCH_EN: 0
; COMPUTE_PGM_RSRC2:USER_SGPR: 2
; COMPUTE_PGM_RSRC2:TRAP_HANDLER: 0
; COMPUTE_PGM_RSRC2:TGID_X_EN: 1
; COMPUTE_PGM_RSRC2:TGID_Y_EN: 0
; COMPUTE_PGM_RSRC2:TGID_Z_EN: 0
; COMPUTE_PGM_RSRC2:TIDIG_COMP_CNT: 0
	.section	.text._ZN2at6native21col2im_batched_kernelIN3c107complexIfEEEEvlPKT_llllllllllllllPS5_l,"axG",@progbits,_ZN2at6native21col2im_batched_kernelIN3c107complexIfEEEEvlPKT_llllllllllllllPS5_l,comdat
	.protected	_ZN2at6native21col2im_batched_kernelIN3c107complexIfEEEEvlPKT_llllllllllllllPS5_l ; -- Begin function _ZN2at6native21col2im_batched_kernelIN3c107complexIfEEEEvlPKT_llllllllllllllPS5_l
	.globl	_ZN2at6native21col2im_batched_kernelIN3c107complexIfEEEEvlPKT_llllllllllllllPS5_l
	.p2align	8
	.type	_ZN2at6native21col2im_batched_kernelIN3c107complexIfEEEEvlPKT_llllllllllllllPS5_l,@function
_ZN2at6native21col2im_batched_kernelIN3c107complexIfEEEEvlPKT_llllllllllllllPS5_l: ; @_ZN2at6native21col2im_batched_kernelIN3c107complexIfEEEEvlPKT_llllllllllllllPS5_l
; %bb.0:
	s_load_b32 s2, s[0:1], 0x9c
	s_bfe_u32 s20, ttmp6, 0x4000c
	s_load_b512 s[4:19], s[0:1], 0x0
	v_mov_b32_e32 v2, 0
	s_add_co_i32 s20, s20, 1
	s_and_b32 s3, ttmp6, 15
	s_mul_i32 s20, ttmp9, s20
	s_getreg_b32 s21, hwreg(HW_REG_IB_STS2, 6, 4)
	v_mov_b32_e32 v1, v2
	s_add_co_i32 s3, s3, s20
	s_mov_b32 s20, exec_lo
	s_wait_kmcnt 0x0
	s_and_b32 s2, s2, 0xffff
	s_cmp_eq_u32 s21, 0
	s_mul_u64 s[10:11], s[10:11], s[4:5]
	s_cselect_b32 s3, ttmp9, s3
	s_delay_alu instid0(SALU_CYCLE_1) | instskip(SKIP_1) | instid1(VALU_DEP_1)
	v_mad_nc_u64_u32 v[0:1], s2, s3, v[0:1]
	s_mov_b32 s3, 0
	v_cmpx_gt_i64_e64 s[10:11], v[0:1]
	s_cbranch_execz .LBB3_59
; %bb.1:
	s_load_b512 s[36:51], s[0:1], 0x40
	s_add_nc_u64 s[20:21], s[0:1], 0x90
	v_cvt_f32_u32_e32 v3, s4
	s_load_b32 s26, s[20:21], 0x0
	s_add_nc_u64 s[52:53], s[16:17], -1
	s_wait_xcnt 0x0
	s_load_b128 s[20:23], s[0:1], 0x80
	s_wait_xcnt 0x0
	s_add_nc_u64 s[0:1], s[18:19], -1
	v_rcp_iflag_f32_e32 v3, v3
	s_mul_u64 s[24:25], s[14:15], s[12:13]
	s_mov_b32 s27, s3
	s_lshl_b64 s[8:9], s[8:9], 3
	s_mov_b64 s[28:29], 0xffffffff
	s_ashr_i32 s30, s5, 31
	s_mov_b32 s33, 0
	v_nop
	v_mul_f32_e32 v3, 0x4f7ffffe, v3
	s_delay_alu instid0(VALU_DEP_1)
	v_cvt_u32_f32_e32 v36, v3
	s_wait_kmcnt 0x0
	s_mul_u64 s[34:35], s[46:47], s[0:1]
	s_mul_u64 s[52:53], s[44:45], s[52:53]
	s_lshl_b64 s[54:55], s[50:51], 3
	s_not_b64 s[56:57], s[52:53]
	s_not_b64 s[58:59], s[34:35]
	s_mul_i32 s26, s26, s2
	s_branch .LBB3_4
.LBB3_2:                                ;   in Loop: Header=BB3_4 Depth=1
	s_or_b32 exec_lo, exec_lo, s64
.LBB3_3:                                ;   in Loop: Header=BB3_4 Depth=1
	s_delay_alu instid0(SALU_CYCLE_1) | instskip(SKIP_2) | instid1(VALU_DEP_1)
	s_or_b32 exec_lo, exec_lo, s31
	v_mul_u64_e32 v[4:5], s[22:23], v[4:5]
	v_add_nc_u64_e32 v[0:1], s[26:27], v[0:1]
	v_cmp_le_i64_e32 vcc_lo, s[10:11], v[0:1]
	s_or_b32 s33, vcc_lo, s33
	s_delay_alu instid0(VALU_DEP_3) | instskip(NEXT) | instid1(VALU_DEP_1)
	v_lshl_add_u64 v[4:5], v[4:5], 3, s[20:21]
	v_lshl_add_u64 v[4:5], v[6:7], 3, v[4:5]
	global_store_b64 v[4:5], v[22:23], off
	s_wait_xcnt 0x0
	s_and_not1_b32 exec_lo, exec_lo, s33
	s_cbranch_execz .LBB3_59
.LBB3_4:                                ; =>This Loop Header: Depth=1
                                        ;     Child Loop BB3_44 Depth 2
                                        ;       Child Loop BB3_52 Depth 3
	v_or_b32_e32 v3, s5, v1
                                        ; implicit-def: $vgpr4_vgpr5
	s_mov_b32 s0, exec_lo
	s_delay_alu instid0(VALU_DEP_1)
	v_cmpx_ne_u64_e32 0, v[2:3]
	s_xor_b32 s1, exec_lo, s0
	s_cbranch_execz .LBB3_6
; %bb.5:                                ;   in Loop: Header=BB3_4 Depth=1
	s_mov_b32 s31, s30
	v_dual_mov_b32 v9, v2 :: v_dual_ashrrev_i32 v4, 31, v1
	s_add_nc_u64 s[60:61], s[4:5], s[30:31]
	s_delay_alu instid0(SALU_CYCLE_1) | instskip(NEXT) | instid1(VALU_DEP_1)
	s_xor_b64 s[60:61], s[60:61], s[30:31]
	v_mov_b32_e32 v5, v4
	s_cvt_f32_u32 s0, s60
	s_cvt_f32_u32 s2, s61
	s_sub_nc_u64 s[64:65], 0, s[60:61]
	s_delay_alu instid0(VALU_DEP_1) | instskip(NEXT) | instid1(SALU_CYCLE_1)
	v_add_nc_u64_e32 v[6:7], v[0:1], v[4:5]
	s_fmamk_f32 s0, s2, 0x4f800000, s0
	v_mov_b32_e32 v13, v2
	s_delay_alu instid0(SALU_CYCLE_2) | instskip(NEXT) | instid1(VALU_DEP_2)
	v_s_rcp_f32 s0, s0
	v_xor_b32_e32 v8, v6, v4
	s_delay_alu instid0(VALU_DEP_3) | instskip(SKIP_1) | instid1(TRANS32_DEP_1)
	v_dual_mov_b32 v17, v2 :: v_dual_bitop2_b32 v12, v7, v4 bitop3:0x14
	v_xor_b32_e32 v4, s30, v4
	s_mul_f32 s0, s0, 0x5f7ffffc
	s_delay_alu instid0(SALU_CYCLE_3) | instskip(NEXT) | instid1(SALU_CYCLE_3)
	s_mul_f32 s2, s0, 0x2f800000
	s_trunc_f32 s2, s2
	s_delay_alu instid0(SALU_CYCLE_3) | instskip(SKIP_1) | instid1(SALU_CYCLE_2)
	s_fmamk_f32 s0, s2, 0xcf800000, s0
	s_cvt_u32_f32 s63, s2
	s_cvt_u32_f32 s62, s0
	s_delay_alu instid0(SALU_CYCLE_3) | instskip(NEXT) | instid1(SALU_CYCLE_1)
	s_mul_u64 s[66:67], s[64:65], s[62:63]
	s_mul_hi_u32 s69, s62, s67
	s_mul_i32 s68, s62, s67
	s_mul_hi_u32 s2, s62, s66
	s_mul_i32 s31, s63, s66
	s_add_nc_u64 s[68:69], s[2:3], s[68:69]
	s_mul_hi_u32 s0, s63, s66
	s_mul_hi_u32 s70, s63, s67
	s_add_co_u32 s2, s68, s31
	s_add_co_ci_u32 s2, s69, s0
	s_mul_i32 s66, s63, s67
	s_add_co_ci_u32 s67, s70, 0
	s_delay_alu instid0(SALU_CYCLE_1) | instskip(NEXT) | instid1(SALU_CYCLE_1)
	s_add_nc_u64 s[66:67], s[2:3], s[66:67]
	s_add_co_u32 s62, s62, s66
	s_cselect_b32 s0, -1, 0
	s_delay_alu instid0(SALU_CYCLE_1) | instskip(SKIP_1) | instid1(SALU_CYCLE_1)
	s_cmp_lg_u32 s0, 0
	s_add_co_ci_u32 s63, s63, s67
	s_mul_u64 s[64:65], s[64:65], s[62:63]
	s_delay_alu instid0(SALU_CYCLE_1)
	s_mul_hi_u32 s67, s62, s65
	s_mul_i32 s66, s62, s65
	s_mul_hi_u32 s2, s62, s64
	s_mul_i32 s31, s63, s64
	s_add_nc_u64 s[66:67], s[2:3], s[66:67]
	s_mul_hi_u32 s0, s63, s64
	s_mul_hi_u32 s68, s63, s65
	s_add_co_u32 s2, s66, s31
	s_add_co_ci_u32 s2, s67, s0
	s_mul_i32 s64, s63, s65
	s_add_co_ci_u32 s65, s68, 0
	s_delay_alu instid0(SALU_CYCLE_1) | instskip(NEXT) | instid1(SALU_CYCLE_1)
	s_add_nc_u64 s[64:65], s[2:3], s[64:65]
	s_add_co_u32 s0, s62, s64
	s_cselect_b32 s2, -1, 0
	v_mul_hi_u32 v16, v8, s0
	s_cmp_lg_u32 s2, 0
	s_add_co_ci_u32 s2, s63, s65
	s_and_b64 s[62:63], s[0:1], s[28:29]
	v_mul_u64_e32 v[10:11], s[2:3], v[8:9]
	v_mul_u64_e32 v[6:7], s[62:63], v[12:13]
	;; [unrolled: 1-line block ×3, first 2 shown]
	s_delay_alu instid0(VALU_DEP_3) | instskip(NEXT) | instid1(VALU_DEP_1)
	v_add_nc_u64_e32 v[10:11], v[16:17], v[10:11]
	v_add_co_u32 v3, vcc_lo, v10, v6
	s_delay_alu instid0(VALU_DEP_2) | instskip(NEXT) | instid1(VALU_DEP_4)
	v_add_co_ci_u32_e32 v16, vcc_lo, v11, v7, vcc_lo
	v_add_co_ci_u32_e32 v15, vcc_lo, 0, v15, vcc_lo
	s_delay_alu instid0(VALU_DEP_1) | instskip(NEXT) | instid1(VALU_DEP_1)
	v_add_nc_u64_e32 v[6:7], v[16:17], v[14:15]
	v_mul_u64_e32 v[10:11], s[60:61], v[6:7]
	s_delay_alu instid0(VALU_DEP_1) | instskip(NEXT) | instid1(VALU_DEP_2)
	v_sub_nc_u32_e32 v3, v12, v11
	v_sub_co_u32 v5, vcc_lo, v8, v10
	s_delay_alu instid0(VALU_DEP_1) | instskip(NEXT) | instid1(VALU_DEP_3)
	v_sub_co_ci_u32_e64 v12, null, v12, v11, vcc_lo
	v_subrev_co_ci_u32_e64 v3, null, s61, v3, vcc_lo
	s_delay_alu instid0(VALU_DEP_3) | instskip(SKIP_1) | instid1(VALU_DEP_3)
	v_sub_co_u32 v8, s0, v5, s60
	v_add_nc_u64_e32 v[10:11], 1, v[6:7]
	v_subrev_co_ci_u32_e64 v3, null, 0, v3, s0
	s_delay_alu instid0(VALU_DEP_3) | instskip(SKIP_1) | instid1(VALU_DEP_3)
	v_cmp_le_u32_e32 vcc_lo, s60, v8
	v_cndmask_b32_e64 v8, 0, -1, vcc_lo
	v_cmp_le_u32_e32 vcc_lo, s61, v3
	v_cndmask_b32_e64 v9, 0, -1, vcc_lo
	;; [unrolled: 2-line block ×4, first 2 shown]
	v_cmp_eq_u32_e32 vcc_lo, s61, v3
	v_cndmask_b32_e32 v3, v9, v8, vcc_lo
	v_cmp_eq_u32_e32 vcc_lo, s61, v12
	v_add_nc_u64_e32 v[8:9], 2, v[6:7]
	v_cndmask_b32_e32 v5, v13, v5, vcc_lo
	s_delay_alu instid0(VALU_DEP_4) | instskip(NEXT) | instid1(VALU_DEP_2)
	v_cmp_ne_u32_e32 vcc_lo, 0, v3
	v_cmp_ne_u32_e64 s0, 0, v5
	s_delay_alu instid0(VALU_DEP_4) | instskip(NEXT) | instid1(VALU_DEP_1)
	v_dual_cndmask_b32 v3, v11, v9, vcc_lo :: v_dual_cndmask_b32 v5, v10, v8, vcc_lo
	v_dual_cndmask_b32 v6, v6, v5, s0 :: v_dual_mov_b32 v5, v4
	s_delay_alu instid0(VALU_DEP_1) | instskip(NEXT) | instid1(VALU_DEP_1)
	v_dual_cndmask_b32 v3, v7, v3, s0 :: v_dual_bitop2_b32 v6, v6, v4 bitop3:0x14
	v_xor_b32_e32 v7, v3, v4
	s_delay_alu instid0(VALU_DEP_1)
	v_sub_nc_u64_e32 v[4:5], v[6:7], v[4:5]
.LBB3_6:                                ;   in Loop: Header=BB3_4 Depth=1
	s_and_not1_saveexec_b32 s0, s1
	s_cbranch_execz .LBB3_8
; %bb.7:                                ;   in Loop: Header=BB3_4 Depth=1
	s_sub_co_i32 s1, 0, s4
	s_delay_alu instid0(SALU_CYCLE_1) | instskip(NEXT) | instid1(VALU_DEP_1)
	v_mul_lo_u32 v3, s1, v36
	v_mul_hi_u32 v3, v36, v3
	s_delay_alu instid0(VALU_DEP_1) | instskip(NEXT) | instid1(VALU_DEP_1)
	v_add_nc_u32_e32 v3, v36, v3
	v_mul_hi_u32 v3, v0, v3
	s_delay_alu instid0(VALU_DEP_1) | instskip(NEXT) | instid1(VALU_DEP_1)
	v_mul_lo_u32 v4, v3, s4
	v_dual_add_nc_u32 v5, 1, v3 :: v_dual_sub_nc_u32 v4, v0, v4
	s_delay_alu instid0(VALU_DEP_1) | instskip(SKIP_1) | instid1(VALU_DEP_2)
	v_subrev_nc_u32_e32 v6, s4, v4
	v_cmp_le_u32_e32 vcc_lo, s4, v4
	v_dual_cndmask_b32 v4, v4, v6 :: v_dual_cndmask_b32 v3, v3, v5
	s_delay_alu instid0(VALU_DEP_1) | instskip(NEXT) | instid1(VALU_DEP_2)
	v_cmp_le_u32_e32 vcc_lo, s4, v4
	v_add_nc_u32_e32 v5, 1, v3
	s_delay_alu instid0(VALU_DEP_1)
	v_dual_cndmask_b32 v4, v3, v5 :: v_dual_mov_b32 v5, v2
.LBB3_8:                                ;   in Loop: Header=BB3_4 Depth=1
	s_or_b32 exec_lo, exec_lo, s0
	s_delay_alu instid0(VALU_DEP_1) | instskip(SKIP_1) | instid1(VALU_DEP_1)
	v_mul_u64_e32 v[8:9], s[4:5], v[4:5]
                                        ; implicit-def: $vgpr16_vgpr17
	s_mov_b32 s0, exec_lo
	v_sub_nc_u64_e32 v[6:7], v[0:1], v[8:9]
	s_delay_alu instid0(VALU_DEP_1) | instskip(NEXT) | instid1(VALU_DEP_1)
	v_dual_ashrrev_i32 v10, 31, v7 :: v_dual_bitop2_b32 v3, s15, v7 bitop3:0x54
	v_cmpx_ne_u64_e32 0, v[2:3]
	s_xor_b32 s1, exec_lo, s0
	s_cbranch_execz .LBB3_10
; %bb.9:                                ;   in Loop: Header=BB3_4 Depth=1
	s_ashr_i32 s60, s15, 31
	v_dual_mov_b32 v11, v10 :: v_dual_mov_b32 v15, v2
	s_mov_b32 s61, s60
	v_mov_b32_e32 v19, v2
	s_add_nc_u64 s[62:63], s[14:15], s[60:61]
	s_delay_alu instid0(VALU_DEP_2)
	v_add_nc_u64_e32 v[12:13], v[6:7], v[10:11]
	s_xor_b64 s[62:63], s[62:63], s[60:61]
	v_mov_b32_e32 v23, v2
	s_cvt_f32_u32 s0, s62
	s_cvt_f32_u32 s2, s63
	s_sub_nc_u64 s[66:67], 0, s[62:63]
	s_delay_alu instid0(VALU_DEP_2) | instskip(NEXT) | instid1(SALU_CYCLE_1)
	v_xor_b32_e32 v14, v12, v10
	s_fmamk_f32 s0, s2, 0x4f800000, s0
	v_xor_b32_e32 v18, v13, v10
	s_delay_alu instid0(SALU_CYCLE_2) | instskip(NEXT) | instid1(TRANS32_DEP_1)
	v_s_rcp_f32 s0, s0
	s_mul_f32 s0, s0, 0x5f7ffffc
	s_delay_alu instid0(SALU_CYCLE_3) | instskip(NEXT) | instid1(SALU_CYCLE_3)
	s_mul_f32 s2, s0, 0x2f800000
	s_trunc_f32 s2, s2
	s_delay_alu instid0(SALU_CYCLE_3) | instskip(SKIP_1) | instid1(SALU_CYCLE_2)
	s_fmamk_f32 s0, s2, 0xcf800000, s0
	s_cvt_u32_f32 s65, s2
	s_cvt_u32_f32 s64, s0
	s_delay_alu instid0(SALU_CYCLE_3) | instskip(NEXT) | instid1(SALU_CYCLE_1)
	s_mul_u64 s[68:69], s[66:67], s[64:65]
	s_mul_hi_u32 s71, s64, s69
	s_mul_i32 s70, s64, s69
	s_mul_hi_u32 s2, s64, s68
	s_mul_i32 s31, s65, s68
	s_add_nc_u64 s[70:71], s[2:3], s[70:71]
	s_mul_hi_u32 s0, s65, s68
	s_mul_hi_u32 s61, s65, s69
	s_add_co_u32 s2, s70, s31
	s_add_co_ci_u32 s2, s71, s0
	s_mul_i32 s68, s65, s69
	s_add_co_ci_u32 s69, s61, 0
	s_delay_alu instid0(SALU_CYCLE_1) | instskip(NEXT) | instid1(SALU_CYCLE_1)
	s_add_nc_u64 s[68:69], s[2:3], s[68:69]
	s_add_co_u32 s64, s64, s68
	s_cselect_b32 s0, -1, 0
	s_delay_alu instid0(SALU_CYCLE_1) | instskip(SKIP_1) | instid1(SALU_CYCLE_1)
	s_cmp_lg_u32 s0, 0
	s_add_co_ci_u32 s65, s65, s69
	s_mul_u64 s[66:67], s[66:67], s[64:65]
	s_delay_alu instid0(SALU_CYCLE_1)
	s_mul_hi_u32 s69, s64, s67
	s_mul_i32 s68, s64, s67
	s_mul_hi_u32 s2, s64, s66
	s_mul_i32 s31, s65, s66
	s_add_nc_u64 s[68:69], s[2:3], s[68:69]
	s_mul_hi_u32 s0, s65, s66
	s_mul_hi_u32 s61, s65, s67
	s_add_co_u32 s2, s68, s31
	s_add_co_ci_u32 s2, s69, s0
	s_mul_i32 s66, s65, s67
	s_add_co_ci_u32 s67, s61, 0
	s_delay_alu instid0(SALU_CYCLE_1) | instskip(NEXT) | instid1(SALU_CYCLE_1)
	s_add_nc_u64 s[66:67], s[2:3], s[66:67]
	s_add_co_u32 s0, s64, s66
	s_cselect_b32 s2, -1, 0
	v_nop
	v_mul_hi_u32 v22, v14, s0
	s_cmp_lg_u32 s2, 0
	s_add_co_ci_u32 s2, s65, s67
	s_and_b64 s[64:65], s[0:1], s[28:29]
	v_mul_u64_e32 v[16:17], s[2:3], v[14:15]
	v_mul_u64_e32 v[12:13], s[64:65], v[18:19]
	;; [unrolled: 1-line block ×3, first 2 shown]
	s_delay_alu instid0(VALU_DEP_3) | instskip(NEXT) | instid1(VALU_DEP_1)
	v_add_nc_u64_e32 v[16:17], v[22:23], v[16:17]
	v_add_co_u32 v3, vcc_lo, v16, v12
	s_delay_alu instid0(VALU_DEP_2) | instskip(NEXT) | instid1(VALU_DEP_4)
	v_add_co_ci_u32_e32 v22, vcc_lo, v17, v13, vcc_lo
	v_add_co_ci_u32_e32 v21, vcc_lo, 0, v21, vcc_lo
	s_delay_alu instid0(VALU_DEP_1) | instskip(NEXT) | instid1(VALU_DEP_1)
	v_add_nc_u64_e32 v[12:13], v[22:23], v[20:21]
	v_mul_u64_e32 v[16:17], s[62:63], v[12:13]
	s_delay_alu instid0(VALU_DEP_1) | instskip(NEXT) | instid1(VALU_DEP_2)
	v_sub_nc_u32_e32 v3, v18, v17
	v_sub_co_u32 v11, vcc_lo, v14, v16
	s_delay_alu instid0(VALU_DEP_1) | instskip(NEXT) | instid1(VALU_DEP_3)
	v_sub_co_ci_u32_e64 v18, null, v18, v17, vcc_lo
	v_subrev_co_ci_u32_e64 v3, null, s63, v3, vcc_lo
	s_delay_alu instid0(VALU_DEP_3) | instskip(SKIP_1) | instid1(VALU_DEP_3)
	v_sub_co_u32 v14, s0, v11, s62
	v_add_nc_u64_e32 v[16:17], 1, v[12:13]
	v_subrev_co_ci_u32_e64 v3, null, 0, v3, s0
	s_delay_alu instid0(VALU_DEP_3) | instskip(SKIP_1) | instid1(VALU_DEP_3)
	v_cmp_le_u32_e32 vcc_lo, s62, v14
	v_cndmask_b32_e64 v14, 0, -1, vcc_lo
	v_cmp_le_u32_e32 vcc_lo, s63, v3
	v_cndmask_b32_e64 v15, 0, -1, vcc_lo
	;; [unrolled: 2-line block ×4, first 2 shown]
	v_cmp_eq_u32_e32 vcc_lo, s63, v3
	v_cndmask_b32_e32 v3, v15, v14, vcc_lo
	v_cmp_eq_u32_e32 vcc_lo, s63, v18
	v_add_nc_u64_e32 v[14:15], 2, v[12:13]
	v_cndmask_b32_e32 v11, v19, v11, vcc_lo
	s_delay_alu instid0(VALU_DEP_4) | instskip(NEXT) | instid1(VALU_DEP_2)
	v_cmp_ne_u32_e32 vcc_lo, 0, v3
	v_cmp_ne_u32_e64 s0, 0, v11
	s_delay_alu instid0(VALU_DEP_4) | instskip(NEXT) | instid1(VALU_DEP_1)
	v_dual_cndmask_b32 v3, v17, v15, vcc_lo :: v_dual_cndmask_b32 v11, v16, v14, vcc_lo
	v_dual_cndmask_b32 v3, v13, v3, s0 :: v_dual_bitop2_b32 v14, s60, v10 bitop3:0x14
	s_delay_alu instid0(VALU_DEP_1) | instskip(NEXT) | instid1(VALU_DEP_2)
	v_dual_mov_b32 v15, v14 :: v_dual_cndmask_b32 v11, v12, v11, s0
	v_xor_b32_e32 v13, v3, v14
	s_delay_alu instid0(VALU_DEP_2) | instskip(NEXT) | instid1(VALU_DEP_1)
	v_xor_b32_e32 v12, v11, v14
	v_sub_nc_u64_e32 v[16:17], v[12:13], v[14:15]
.LBB3_10:                               ;   in Loop: Header=BB3_4 Depth=1
	s_and_not1_saveexec_b32 s0, s1
	s_cbranch_execz .LBB3_12
; %bb.11:                               ;   in Loop: Header=BB3_4 Depth=1
	v_cvt_f32_u32_e32 v3, s14
	s_sub_co_i32 s1, 0, s14
	v_mov_b32_e32 v17, v2
	s_delay_alu instid0(VALU_DEP_2) | instskip(SKIP_1) | instid1(TRANS32_DEP_1)
	v_rcp_iflag_f32_e32 v3, v3
	v_nop
	v_mul_f32_e32 v3, 0x4f7ffffe, v3
	s_delay_alu instid0(VALU_DEP_1) | instskip(NEXT) | instid1(VALU_DEP_1)
	v_cvt_u32_f32_e32 v3, v3
	v_mul_lo_u32 v11, s1, v3
	s_delay_alu instid0(VALU_DEP_1) | instskip(NEXT) | instid1(VALU_DEP_1)
	v_mul_hi_u32 v11, v3, v11
	v_add_nc_u32_e32 v3, v3, v11
	s_delay_alu instid0(VALU_DEP_1) | instskip(NEXT) | instid1(VALU_DEP_1)
	v_mul_hi_u32 v3, v6, v3
	v_mul_lo_u32 v11, v3, s14
	s_delay_alu instid0(VALU_DEP_1) | instskip(NEXT) | instid1(VALU_DEP_1)
	v_sub_nc_u32_e32 v11, v6, v11
	v_subrev_nc_u32_e32 v13, s14, v11
	v_cmp_le_u32_e32 vcc_lo, s14, v11
	s_delay_alu instid0(VALU_DEP_2) | instskip(NEXT) | instid1(VALU_DEP_1)
	v_dual_cndmask_b32 v11, v11, v13 :: v_dual_add_nc_u32 v12, 1, v3
	v_cndmask_b32_e32 v3, v3, v12, vcc_lo
	s_delay_alu instid0(VALU_DEP_2) | instskip(NEXT) | instid1(VALU_DEP_2)
	v_cmp_le_u32_e32 vcc_lo, s14, v11
	v_add_nc_u32_e32 v12, 1, v3
	s_delay_alu instid0(VALU_DEP_1)
	v_cndmask_b32_e32 v16, v3, v12, vcc_lo
.LBB3_12:                               ;   in Loop: Header=BB3_4 Depth=1
	s_or_b32 exec_lo, exec_lo, s0
	s_delay_alu instid0(VALU_DEP_1) | instskip(SKIP_1) | instid1(VALU_DEP_1)
	v_or_b32_e32 v3, s13, v17
                                        ; implicit-def: $vgpr12_vgpr13
	s_mov_b32 s0, exec_lo
	v_cmpx_ne_u64_e32 0, v[2:3]
	s_xor_b32 s1, exec_lo, s0
	s_cbranch_execz .LBB3_14
; %bb.13:                               ;   in Loop: Header=BB3_4 Depth=1
	s_ashr_i32 s60, s13, 31
	v_dual_mov_b32 v19, v2 :: v_dual_ashrrev_i32 v12, 31, v17
	s_mov_b32 s61, s60
	v_mov_b32_e32 v27, v2
	s_add_nc_u64 s[62:63], s[12:13], s[60:61]
	s_delay_alu instid0(VALU_DEP_2) | instskip(SKIP_1) | instid1(SALU_CYCLE_1)
	v_mov_b32_e32 v13, v12
	s_xor_b64 s[60:61], s[62:63], s[60:61]
	s_cvt_f32_u32 s0, s60
	s_cvt_f32_u32 s2, s61
	s_sub_nc_u64 s[64:65], 0, s[60:61]
	v_add_nc_u64_e32 v[14:15], v[16:17], v[12:13]
	v_mov_b32_e32 v23, v2
	s_fmamk_f32 s0, s2, 0x4f800000, s0
	s_delay_alu instid0(SALU_CYCLE_3) | instskip(NEXT) | instid1(VALU_DEP_2)
	v_s_rcp_f32 s0, s0
	v_xor_b32_e32 v18, v14, v12
	s_delay_alu instid0(VALU_DEP_3) | instskip(NEXT) | instid1(TRANS32_DEP_1)
	v_xor_b32_e32 v22, v15, v12
	s_mul_f32 s0, s0, 0x5f7ffffc
	s_delay_alu instid0(SALU_CYCLE_3) | instskip(NEXT) | instid1(SALU_CYCLE_3)
	s_mul_f32 s2, s0, 0x2f800000
	s_trunc_f32 s2, s2
	s_delay_alu instid0(SALU_CYCLE_3) | instskip(SKIP_1) | instid1(SALU_CYCLE_2)
	s_fmamk_f32 s0, s2, 0xcf800000, s0
	s_cvt_u32_f32 s63, s2
	s_cvt_u32_f32 s62, s0
	s_delay_alu instid0(SALU_CYCLE_3) | instskip(NEXT) | instid1(SALU_CYCLE_1)
	s_mul_u64 s[66:67], s[64:65], s[62:63]
	s_mul_hi_u32 s69, s62, s67
	s_mul_i32 s68, s62, s67
	s_mul_hi_u32 s2, s62, s66
	s_mul_i32 s31, s63, s66
	s_add_nc_u64 s[68:69], s[2:3], s[68:69]
	s_mul_hi_u32 s0, s63, s66
	s_mul_hi_u32 s70, s63, s67
	s_add_co_u32 s2, s68, s31
	s_add_co_ci_u32 s2, s69, s0
	s_mul_i32 s66, s63, s67
	s_add_co_ci_u32 s67, s70, 0
	s_delay_alu instid0(SALU_CYCLE_1) | instskip(NEXT) | instid1(SALU_CYCLE_1)
	s_add_nc_u64 s[66:67], s[2:3], s[66:67]
	s_add_co_u32 s62, s62, s66
	s_cselect_b32 s0, -1, 0
	s_delay_alu instid0(SALU_CYCLE_1) | instskip(SKIP_1) | instid1(SALU_CYCLE_1)
	s_cmp_lg_u32 s0, 0
	s_add_co_ci_u32 s63, s63, s67
	s_mul_u64 s[64:65], s[64:65], s[62:63]
	s_delay_alu instid0(SALU_CYCLE_1)
	s_mul_hi_u32 s67, s62, s65
	s_mul_i32 s66, s62, s65
	s_mul_hi_u32 s2, s62, s64
	s_mul_i32 s31, s63, s64
	s_add_nc_u64 s[66:67], s[2:3], s[66:67]
	s_mul_hi_u32 s0, s63, s64
	s_mul_hi_u32 s68, s63, s65
	s_add_co_u32 s2, s66, s31
	s_add_co_ci_u32 s2, s67, s0
	s_mul_i32 s64, s63, s65
	s_add_co_ci_u32 s65, s68, 0
	s_delay_alu instid0(SALU_CYCLE_1) | instskip(NEXT) | instid1(SALU_CYCLE_1)
	s_add_nc_u64 s[64:65], s[2:3], s[64:65]
	s_add_co_u32 s0, s62, s64
	s_cselect_b32 s2, -1, 0
	v_mul_hi_u32 v26, v18, s0
	s_cmp_lg_u32 s2, 0
	s_add_co_ci_u32 s2, s63, s65
	s_and_b64 s[62:63], s[0:1], s[28:29]
	v_mul_u64_e32 v[20:21], s[2:3], v[18:19]
	v_mul_u64_e32 v[14:15], s[62:63], v[22:23]
	;; [unrolled: 1-line block ×3, first 2 shown]
	s_delay_alu instid0(VALU_DEP_3) | instskip(NEXT) | instid1(VALU_DEP_1)
	v_add_nc_u64_e32 v[20:21], v[26:27], v[20:21]
	v_add_co_u32 v3, vcc_lo, v20, v14
	s_delay_alu instid0(VALU_DEP_2) | instskip(NEXT) | instid1(VALU_DEP_4)
	v_add_co_ci_u32_e32 v26, vcc_lo, v21, v15, vcc_lo
	v_add_co_ci_u32_e32 v25, vcc_lo, 0, v25, vcc_lo
	s_delay_alu instid0(VALU_DEP_1) | instskip(NEXT) | instid1(VALU_DEP_1)
	v_add_nc_u64_e32 v[14:15], v[26:27], v[24:25]
	v_mul_u64_e32 v[14:15], s[60:61], v[14:15]
	s_delay_alu instid0(VALU_DEP_1) | instskip(NEXT) | instid1(VALU_DEP_2)
	v_sub_nc_u32_e32 v3, v22, v15
	v_sub_co_u32 v11, vcc_lo, v18, v14
	s_delay_alu instid0(VALU_DEP_1) | instskip(NEXT) | instid1(VALU_DEP_3)
	v_sub_co_ci_u32_e64 v14, null, v22, v15, vcc_lo
	v_subrev_co_ci_u32_e64 v3, null, s61, v3, vcc_lo
	s_delay_alu instid0(VALU_DEP_3) | instskip(SKIP_1) | instid1(VALU_DEP_3)
	v_sub_co_u32 v15, vcc_lo, v11, s60
	v_cmp_le_u32_e64 s0, s60, v11
	v_subrev_co_ci_u32_e64 v18, null, 0, v3, vcc_lo
	v_subrev_co_ci_u32_e64 v3, null, s61, v3, vcc_lo
	s_delay_alu instid0(VALU_DEP_3) | instskip(SKIP_2) | instid1(VALU_DEP_2)
	v_cndmask_b32_e64 v19, 0, -1, s0
	v_cmp_le_u32_e64 s0, s60, v15
	v_cmp_le_u32_e32 vcc_lo, s61, v14
	v_cndmask_b32_e64 v20, 0, -1, s0
	v_cmp_le_u32_e64 s0, s61, v18
	v_cndmask_b32_e64 v22, 0, -1, vcc_lo
	v_cmp_eq_u32_e32 vcc_lo, s61, v18
	s_delay_alu instid0(VALU_DEP_3) | instskip(SKIP_1) | instid1(VALU_DEP_2)
	v_cndmask_b32_e64 v21, 0, -1, s0
	v_cmp_eq_u32_e64 s0, s61, v14
	v_cndmask_b32_e32 v20, v21, v20, vcc_lo
	v_sub_co_u32 v21, vcc_lo, v15, s60
	s_delay_alu instid0(VALU_DEP_1) | instskip(NEXT) | instid1(VALU_DEP_3)
	v_subrev_co_ci_u32_e64 v3, null, 0, v3, vcc_lo
	v_cmp_ne_u32_e32 vcc_lo, 0, v20
	v_cndmask_b32_e64 v19, v22, v19, s0
	s_delay_alu instid0(VALU_DEP_3) | instskip(NEXT) | instid1(VALU_DEP_2)
	v_dual_cndmask_b32 v3, v18, v3, vcc_lo :: v_dual_cndmask_b32 v15, v15, v21, vcc_lo
	v_cmp_ne_u32_e32 vcc_lo, 0, v19
	s_delay_alu instid0(VALU_DEP_2) | instskip(NEXT) | instid1(VALU_DEP_3)
	v_cndmask_b32_e32 v3, v14, v3, vcc_lo
	v_cndmask_b32_e32 v11, v11, v15, vcc_lo
	s_delay_alu instid0(VALU_DEP_2) | instskip(NEXT) | instid1(VALU_DEP_2)
	v_xor_b32_e32 v15, v3, v12
	v_xor_b32_e32 v14, v11, v12
	s_delay_alu instid0(VALU_DEP_1)
	v_sub_nc_u64_e32 v[12:13], v[14:15], v[12:13]
.LBB3_14:                               ;   in Loop: Header=BB3_4 Depth=1
	s_and_not1_saveexec_b32 s0, s1
	s_cbranch_execz .LBB3_16
; %bb.15:                               ;   in Loop: Header=BB3_4 Depth=1
	v_cvt_f32_u32_e32 v3, s12
	s_sub_co_i32 s1, 0, s12
	v_mov_b32_e32 v13, v2
	s_delay_alu instid0(VALU_DEP_2) | instskip(SKIP_1) | instid1(TRANS32_DEP_1)
	v_rcp_iflag_f32_e32 v3, v3
	v_nop
	v_mul_f32_e32 v3, 0x4f7ffffe, v3
	s_delay_alu instid0(VALU_DEP_1) | instskip(NEXT) | instid1(VALU_DEP_1)
	v_cvt_u32_f32_e32 v3, v3
	v_mul_lo_u32 v11, s1, v3
	s_delay_alu instid0(VALU_DEP_1) | instskip(NEXT) | instid1(VALU_DEP_1)
	v_mul_hi_u32 v11, v3, v11
	v_add_nc_u32_e32 v3, v3, v11
	s_delay_alu instid0(VALU_DEP_1) | instskip(NEXT) | instid1(VALU_DEP_1)
	v_mul_hi_u32 v3, v16, v3
	v_mul_lo_u32 v3, v3, s12
	s_delay_alu instid0(VALU_DEP_1) | instskip(NEXT) | instid1(VALU_DEP_1)
	v_sub_nc_u32_e32 v3, v16, v3
	v_subrev_nc_u32_e32 v11, s12, v3
	v_cmp_le_u32_e32 vcc_lo, s12, v3
	s_delay_alu instid0(VALU_DEP_2) | instskip(NEXT) | instid1(VALU_DEP_1)
	v_cndmask_b32_e32 v3, v3, v11, vcc_lo
	v_subrev_nc_u32_e32 v11, s12, v3
	v_cmp_le_u32_e32 vcc_lo, s12, v3
	s_delay_alu instid0(VALU_DEP_2)
	v_cndmask_b32_e32 v12, v3, v11, vcc_lo
.LBB3_16:                               ;   in Loop: Header=BB3_4 Depth=1
	s_or_b32 exec_lo, exec_lo, s0
	v_or_b32_e32 v3, s25, v7
                                        ; implicit-def: $vgpr14_vgpr15
	s_mov_b32 s0, exec_lo
	s_delay_alu instid0(VALU_DEP_1)
	v_cmpx_ne_u64_e32 0, v[2:3]
	s_xor_b32 s1, exec_lo, s0
	s_cbranch_execz .LBB3_18
; %bb.17:                               ;   in Loop: Header=BB3_4 Depth=1
	s_ashr_i32 s60, s25, 31
	v_dual_mov_b32 v11, v10 :: v_dual_mov_b32 v19, v2
	s_mov_b32 s61, s60
	v_mov_b32_e32 v27, v2
	s_add_nc_u64 s[62:63], s[24:25], s[60:61]
	s_delay_alu instid0(VALU_DEP_2)
	v_add_nc_u64_e32 v[14:15], v[6:7], v[10:11]
	s_xor_b64 s[62:63], s[62:63], s[60:61]
	v_mov_b32_e32 v23, v2
	s_cvt_f32_u32 s0, s62
	s_cvt_f32_u32 s2, s63
	s_sub_nc_u64 s[66:67], 0, s[62:63]
	s_delay_alu instid0(VALU_DEP_2) | instskip(NEXT) | instid1(SALU_CYCLE_1)
	v_xor_b32_e32 v18, v14, v10
	s_fmamk_f32 s0, s2, 0x4f800000, s0
	v_xor_b32_e32 v22, v15, v10
	v_xor_b32_e32 v10, s60, v10
	s_delay_alu instid0(SALU_CYCLE_1) | instskip(NEXT) | instid1(TRANS32_DEP_1)
	v_s_rcp_f32 s0, s0
	s_mul_f32 s0, s0, 0x5f7ffffc
	s_delay_alu instid0(SALU_CYCLE_3) | instskip(NEXT) | instid1(SALU_CYCLE_3)
	s_mul_f32 s2, s0, 0x2f800000
	s_trunc_f32 s2, s2
	s_delay_alu instid0(SALU_CYCLE_3) | instskip(SKIP_1) | instid1(SALU_CYCLE_2)
	s_fmamk_f32 s0, s2, 0xcf800000, s0
	s_cvt_u32_f32 s65, s2
	s_cvt_u32_f32 s64, s0
	s_delay_alu instid0(SALU_CYCLE_3) | instskip(NEXT) | instid1(SALU_CYCLE_1)
	s_mul_u64 s[68:69], s[66:67], s[64:65]
	s_mul_hi_u32 s71, s64, s69
	s_mul_i32 s70, s64, s69
	s_mul_hi_u32 s2, s64, s68
	s_mul_i32 s31, s65, s68
	s_add_nc_u64 s[70:71], s[2:3], s[70:71]
	s_mul_hi_u32 s0, s65, s68
	s_mul_hi_u32 s61, s65, s69
	s_add_co_u32 s2, s70, s31
	s_add_co_ci_u32 s2, s71, s0
	s_mul_i32 s68, s65, s69
	s_add_co_ci_u32 s69, s61, 0
	s_delay_alu instid0(SALU_CYCLE_1) | instskip(NEXT) | instid1(SALU_CYCLE_1)
	s_add_nc_u64 s[68:69], s[2:3], s[68:69]
	s_add_co_u32 s64, s64, s68
	s_cselect_b32 s0, -1, 0
	s_delay_alu instid0(SALU_CYCLE_1) | instskip(SKIP_1) | instid1(SALU_CYCLE_1)
	s_cmp_lg_u32 s0, 0
	s_add_co_ci_u32 s65, s65, s69
	s_mul_u64 s[66:67], s[66:67], s[64:65]
	s_delay_alu instid0(SALU_CYCLE_1)
	s_mul_hi_u32 s69, s64, s67
	s_mul_i32 s68, s64, s67
	s_mul_hi_u32 s2, s64, s66
	s_mul_i32 s31, s65, s66
	s_add_nc_u64 s[68:69], s[2:3], s[68:69]
	s_mul_hi_u32 s0, s65, s66
	s_mul_hi_u32 s61, s65, s67
	s_add_co_u32 s2, s68, s31
	s_add_co_ci_u32 s2, s69, s0
	s_mul_i32 s66, s65, s67
	s_add_co_ci_u32 s67, s61, 0
	s_delay_alu instid0(SALU_CYCLE_1) | instskip(NEXT) | instid1(SALU_CYCLE_1)
	s_add_nc_u64 s[66:67], s[2:3], s[66:67]
	s_add_co_u32 s0, s64, s66
	s_cselect_b32 s2, -1, 0
	v_nop
	v_mul_hi_u32 v26, v18, s0
	s_cmp_lg_u32 s2, 0
	s_add_co_ci_u32 s2, s65, s67
	s_and_b64 s[64:65], s[0:1], s[28:29]
	v_mul_u64_e32 v[20:21], s[2:3], v[18:19]
	v_mul_u64_e32 v[14:15], s[64:65], v[22:23]
	;; [unrolled: 1-line block ×3, first 2 shown]
	s_delay_alu instid0(VALU_DEP_3) | instskip(NEXT) | instid1(VALU_DEP_1)
	v_add_nc_u64_e32 v[20:21], v[26:27], v[20:21]
	v_add_co_u32 v3, vcc_lo, v20, v14
	s_delay_alu instid0(VALU_DEP_2) | instskip(NEXT) | instid1(VALU_DEP_4)
	v_add_co_ci_u32_e32 v26, vcc_lo, v21, v15, vcc_lo
	v_add_co_ci_u32_e32 v25, vcc_lo, 0, v25, vcc_lo
	s_delay_alu instid0(VALU_DEP_1) | instskip(NEXT) | instid1(VALU_DEP_1)
	v_add_nc_u64_e32 v[14:15], v[26:27], v[24:25]
	v_mul_u64_e32 v[20:21], s[62:63], v[14:15]
	s_delay_alu instid0(VALU_DEP_1) | instskip(NEXT) | instid1(VALU_DEP_2)
	v_sub_nc_u32_e32 v3, v22, v21
	v_sub_co_u32 v11, vcc_lo, v18, v20
	s_delay_alu instid0(VALU_DEP_1) | instskip(NEXT) | instid1(VALU_DEP_3)
	v_sub_co_ci_u32_e64 v22, null, v22, v21, vcc_lo
	v_subrev_co_ci_u32_e64 v3, null, s63, v3, vcc_lo
	s_delay_alu instid0(VALU_DEP_3) | instskip(SKIP_1) | instid1(VALU_DEP_3)
	v_sub_co_u32 v18, s0, v11, s62
	v_add_nc_u64_e32 v[20:21], 1, v[14:15]
	v_subrev_co_ci_u32_e64 v3, null, 0, v3, s0
	s_delay_alu instid0(VALU_DEP_3) | instskip(SKIP_1) | instid1(VALU_DEP_3)
	v_cmp_le_u32_e32 vcc_lo, s62, v18
	v_cndmask_b32_e64 v18, 0, -1, vcc_lo
	v_cmp_le_u32_e32 vcc_lo, s63, v3
	v_cndmask_b32_e64 v19, 0, -1, vcc_lo
	;; [unrolled: 2-line block ×4, first 2 shown]
	v_cmp_eq_u32_e32 vcc_lo, s63, v3
	v_cndmask_b32_e32 v3, v19, v18, vcc_lo
	v_cmp_eq_u32_e32 vcc_lo, s63, v22
	v_add_nc_u64_e32 v[18:19], 2, v[14:15]
	v_cndmask_b32_e32 v11, v23, v11, vcc_lo
	s_delay_alu instid0(VALU_DEP_4) | instskip(NEXT) | instid1(VALU_DEP_2)
	v_cmp_ne_u32_e32 vcc_lo, 0, v3
	v_cmp_ne_u32_e64 s0, 0, v11
	s_delay_alu instid0(VALU_DEP_4) | instskip(NEXT) | instid1(VALU_DEP_1)
	v_dual_cndmask_b32 v3, v21, v19, vcc_lo :: v_dual_cndmask_b32 v11, v20, v18, vcc_lo
	v_cndmask_b32_e64 v3, v15, v3, s0
	s_delay_alu instid0(VALU_DEP_2) | instskip(NEXT) | instid1(VALU_DEP_2)
	v_cndmask_b32_e64 v14, v14, v11, s0
	v_dual_mov_b32 v11, v10 :: v_dual_bitop2_b32 v15, v3, v10 bitop3:0x14
	s_delay_alu instid0(VALU_DEP_2) | instskip(NEXT) | instid1(VALU_DEP_1)
	v_xor_b32_e32 v14, v14, v10
	v_sub_nc_u64_e32 v[14:15], v[14:15], v[10:11]
.LBB3_18:                               ;   in Loop: Header=BB3_4 Depth=1
	s_and_not1_saveexec_b32 s0, s1
	s_cbranch_execz .LBB3_20
; %bb.19:                               ;   in Loop: Header=BB3_4 Depth=1
	v_cvt_f32_u32_e32 v3, s24
	s_sub_co_i32 s1, 0, s24
	v_mov_b32_e32 v15, v2
	s_delay_alu instid0(VALU_DEP_2) | instskip(SKIP_1) | instid1(TRANS32_DEP_1)
	v_rcp_iflag_f32_e32 v3, v3
	v_nop
	v_mul_f32_e32 v3, 0x4f7ffffe, v3
	s_delay_alu instid0(VALU_DEP_1) | instskip(NEXT) | instid1(VALU_DEP_1)
	v_cvt_u32_f32_e32 v3, v3
	v_mul_lo_u32 v10, s1, v3
	s_delay_alu instid0(VALU_DEP_1) | instskip(NEXT) | instid1(VALU_DEP_1)
	v_mul_hi_u32 v10, v3, v10
	v_add_nc_u32_e32 v3, v3, v10
	s_delay_alu instid0(VALU_DEP_1) | instskip(NEXT) | instid1(VALU_DEP_1)
	v_mul_hi_u32 v3, v6, v3
	v_mul_lo_u32 v10, v3, s24
	s_delay_alu instid0(VALU_DEP_1) | instskip(NEXT) | instid1(VALU_DEP_1)
	v_sub_nc_u32_e32 v10, v6, v10
	v_subrev_nc_u32_e32 v14, s24, v10
	v_cmp_le_u32_e32 vcc_lo, s24, v10
	s_delay_alu instid0(VALU_DEP_2) | instskip(NEXT) | instid1(VALU_DEP_1)
	v_dual_cndmask_b32 v10, v10, v14 :: v_dual_add_nc_u32 v11, 1, v3
	v_cndmask_b32_e32 v3, v3, v11, vcc_lo
	s_delay_alu instid0(VALU_DEP_2) | instskip(NEXT) | instid1(VALU_DEP_2)
	v_cmp_le_u32_e32 vcc_lo, s24, v10
	v_add_nc_u32_e32 v11, 1, v3
	s_delay_alu instid0(VALU_DEP_1)
	v_cndmask_b32_e32 v14, v3, v11, vcc_lo
.LBB3_20:                               ;   in Loop: Header=BB3_4 Depth=1
	s_or_b32 exec_lo, exec_lo, s0
	v_mul_u64_e32 v[16:17], s[14:15], v[16:17]
	s_mov_b32 s1, exec_lo
	s_delay_alu instid0(VALU_DEP_1) | instskip(NEXT) | instid1(VALU_DEP_1)
	v_sub_nc_u64_e32 v[10:11], v[6:7], v[16:17]
	v_add_nc_u64_e32 v[18:19], s[38:39], v[10:11]
	v_mov_b64_e32 v[10:11], 0
	s_delay_alu instid0(VALU_DEP_2)
	v_cmpx_lt_i64_e64 s[34:35], v[18:19]
	s_cbranch_execz .LBB3_26
; %bb.21:                               ;   in Loop: Header=BB3_4 Depth=1
	v_add_nc_u64_e32 v[10:11], s[58:59], v[18:19]
                                        ; implicit-def: $vgpr20_vgpr21
	s_mov_b32 s0, exec_lo
	s_delay_alu instid0(VALU_DEP_1) | instskip(NEXT) | instid1(VALU_DEP_1)
	v_or_b32_e32 v3, s43, v11
	v_cmpx_ne_u64_e32 0, v[2:3]
	s_xor_b32 s31, exec_lo, s0
	s_cbranch_execz .LBB3_23
; %bb.22:                               ;   in Loop: Header=BB3_4 Depth=1
	s_ashr_i32 s60, s43, 31
	v_dual_mov_b32 v23, v2 :: v_dual_ashrrev_i32 v20, 31, v11
	s_mov_b32 s61, s60
	v_mov_b32_e32 v31, v2
	s_add_nc_u64 s[62:63], s[42:43], s[60:61]
	s_delay_alu instid0(VALU_DEP_2) | instskip(SKIP_1) | instid1(SALU_CYCLE_1)
	v_mov_b32_e32 v21, v20
	s_xor_b64 s[62:63], s[62:63], s[60:61]
	s_cvt_f32_u32 s0, s62
	s_cvt_f32_u32 s2, s63
	s_sub_nc_u64 s[66:67], 0, s[62:63]
	v_add_nc_u64_e32 v[10:11], v[10:11], v[20:21]
	v_mov_b32_e32 v27, v2
	s_fmamk_f32 s0, s2, 0x4f800000, s0
	s_delay_alu instid0(SALU_CYCLE_3) | instskip(NEXT) | instid1(VALU_DEP_2)
	v_s_rcp_f32 s0, s0
	v_xor_b32_e32 v22, v10, v20
	s_delay_alu instid0(VALU_DEP_3) | instskip(NEXT) | instid1(TRANS32_DEP_1)
	v_xor_b32_e32 v26, v11, v20
	s_mul_f32 s0, s0, 0x5f7ffffc
	s_delay_alu instid0(SALU_CYCLE_3) | instskip(NEXT) | instid1(SALU_CYCLE_3)
	s_mul_f32 s2, s0, 0x2f800000
	s_trunc_f32 s2, s2
	s_delay_alu instid0(SALU_CYCLE_3) | instskip(SKIP_1) | instid1(SALU_CYCLE_2)
	s_fmamk_f32 s0, s2, 0xcf800000, s0
	s_cvt_u32_f32 s65, s2
	s_cvt_u32_f32 s64, s0
	s_delay_alu instid0(SALU_CYCLE_3) | instskip(NEXT) | instid1(SALU_CYCLE_1)
	s_mul_u64 s[68:69], s[66:67], s[64:65]
	s_mul_hi_u32 s71, s64, s69
	s_mul_i32 s70, s64, s69
	s_mul_hi_u32 s2, s64, s68
	s_mul_i32 s61, s65, s68
	s_add_nc_u64 s[70:71], s[2:3], s[70:71]
	s_mul_hi_u32 s0, s65, s68
	s_mul_hi_u32 s72, s65, s69
	s_add_co_u32 s2, s70, s61
	s_add_co_ci_u32 s2, s71, s0
	s_mul_i32 s68, s65, s69
	s_add_co_ci_u32 s69, s72, 0
	s_delay_alu instid0(SALU_CYCLE_1) | instskip(NEXT) | instid1(SALU_CYCLE_1)
	s_add_nc_u64 s[68:69], s[2:3], s[68:69]
	s_add_co_u32 s64, s64, s68
	s_cselect_b32 s0, -1, 0
	s_delay_alu instid0(SALU_CYCLE_1) | instskip(SKIP_1) | instid1(SALU_CYCLE_1)
	s_cmp_lg_u32 s0, 0
	s_add_co_ci_u32 s65, s65, s69
	s_mul_u64 s[66:67], s[66:67], s[64:65]
	s_delay_alu instid0(SALU_CYCLE_1)
	s_mul_hi_u32 s69, s64, s67
	s_mul_i32 s68, s64, s67
	s_mul_hi_u32 s2, s64, s66
	s_mul_i32 s61, s65, s66
	s_add_nc_u64 s[68:69], s[2:3], s[68:69]
	s_mul_hi_u32 s0, s65, s66
	s_mul_hi_u32 s70, s65, s67
	s_add_co_u32 s2, s68, s61
	s_add_co_ci_u32 s2, s69, s0
	s_mul_i32 s66, s65, s67
	s_add_co_ci_u32 s67, s70, 0
	s_delay_alu instid0(SALU_CYCLE_1) | instskip(NEXT) | instid1(SALU_CYCLE_1)
	s_add_nc_u64 s[66:67], s[2:3], s[66:67]
	s_add_co_u32 s0, s64, s66
	s_cselect_b32 s2, -1, 0
	v_mul_hi_u32 v30, v22, s0
	s_cmp_lg_u32 s2, 0
	s_add_co_ci_u32 s2, s65, s67
	s_and_b64 s[64:65], s[0:1], s[28:29]
	v_mul_u64_e32 v[24:25], s[2:3], v[22:23]
	v_mul_u64_e32 v[10:11], s[64:65], v[26:27]
	;; [unrolled: 1-line block ×3, first 2 shown]
	s_delay_alu instid0(VALU_DEP_3) | instskip(NEXT) | instid1(VALU_DEP_1)
	v_add_nc_u64_e32 v[24:25], v[30:31], v[24:25]
	v_add_co_u32 v3, vcc_lo, v24, v10
	s_delay_alu instid0(VALU_DEP_2) | instskip(NEXT) | instid1(VALU_DEP_4)
	v_add_co_ci_u32_e32 v30, vcc_lo, v25, v11, vcc_lo
	v_add_co_ci_u32_e32 v29, vcc_lo, 0, v29, vcc_lo
	s_delay_alu instid0(VALU_DEP_1) | instskip(NEXT) | instid1(VALU_DEP_1)
	v_add_nc_u64_e32 v[10:11], v[30:31], v[28:29]
	v_mul_u64_e32 v[24:25], s[62:63], v[10:11]
	s_delay_alu instid0(VALU_DEP_1) | instskip(NEXT) | instid1(VALU_DEP_2)
	v_sub_nc_u32_e32 v3, v26, v25
	v_sub_co_u32 v21, vcc_lo, v22, v24
	s_delay_alu instid0(VALU_DEP_1) | instskip(NEXT) | instid1(VALU_DEP_3)
	v_sub_co_ci_u32_e64 v26, null, v26, v25, vcc_lo
	v_subrev_co_ci_u32_e64 v3, null, s63, v3, vcc_lo
	s_delay_alu instid0(VALU_DEP_3) | instskip(SKIP_1) | instid1(VALU_DEP_3)
	v_sub_co_u32 v22, s0, v21, s62
	v_add_nc_u64_e32 v[24:25], 1, v[10:11]
	v_subrev_co_ci_u32_e64 v3, null, 0, v3, s0
	s_delay_alu instid0(VALU_DEP_3) | instskip(SKIP_1) | instid1(VALU_DEP_3)
	v_cmp_le_u32_e32 vcc_lo, s62, v22
	v_cndmask_b32_e64 v22, 0, -1, vcc_lo
	v_cmp_le_u32_e32 vcc_lo, s63, v3
	v_cndmask_b32_e64 v23, 0, -1, vcc_lo
	;; [unrolled: 2-line block ×4, first 2 shown]
	v_cmp_eq_u32_e32 vcc_lo, s63, v3
	v_cndmask_b32_e32 v3, v23, v22, vcc_lo
	v_cmp_eq_u32_e32 vcc_lo, s63, v26
	v_add_nc_u64_e32 v[22:23], 2, v[10:11]
	v_cndmask_b32_e32 v21, v27, v21, vcc_lo
	s_delay_alu instid0(VALU_DEP_4) | instskip(NEXT) | instid1(VALU_DEP_3)
	v_cmp_ne_u32_e32 vcc_lo, 0, v3
	v_cndmask_b32_e32 v3, v25, v23, vcc_lo
	s_delay_alu instid0(VALU_DEP_3) | instskip(SKIP_1) | instid1(VALU_DEP_1)
	v_cmp_ne_u32_e64 s0, 0, v21
	v_dual_cndmask_b32 v21, v24, v22, vcc_lo :: v_dual_bitop2_b32 v20, s60, v20 bitop3:0x14
	v_dual_cndmask_b32 v3, v11, v3, s0 :: v_dual_cndmask_b32 v10, v10, v21, s0
	s_delay_alu instid0(VALU_DEP_1) | instskip(NEXT) | instid1(VALU_DEP_2)
	v_dual_mov_b32 v21, v20 :: v_dual_bitop2_b32 v11, v3, v20 bitop3:0x14
	v_xor_b32_e32 v10, v10, v20
	s_delay_alu instid0(VALU_DEP_1)
	v_sub_nc_u64_e32 v[20:21], v[10:11], v[20:21]
                                        ; implicit-def: $vgpr10_vgpr11
.LBB3_23:                               ;   in Loop: Header=BB3_4 Depth=1
	s_and_not1_saveexec_b32 s0, s31
	s_cbranch_execz .LBB3_25
; %bb.24:                               ;   in Loop: Header=BB3_4 Depth=1
	v_cvt_f32_u32_e32 v3, s42
	s_sub_co_i32 s2, 0, s42
	v_mov_b32_e32 v21, v2
	s_delay_alu instid0(VALU_DEP_2) | instskip(SKIP_1) | instid1(TRANS32_DEP_1)
	v_rcp_iflag_f32_e32 v3, v3
	v_nop
	v_mul_f32_e32 v3, 0x4f7ffffe, v3
	s_delay_alu instid0(VALU_DEP_1) | instskip(NEXT) | instid1(VALU_DEP_1)
	v_cvt_u32_f32_e32 v3, v3
	v_mul_lo_u32 v11, s2, v3
	s_delay_alu instid0(VALU_DEP_1) | instskip(NEXT) | instid1(VALU_DEP_1)
	v_mul_hi_u32 v11, v3, v11
	v_add_nc_u32_e32 v3, v3, v11
	s_delay_alu instid0(VALU_DEP_1) | instskip(NEXT) | instid1(VALU_DEP_1)
	v_mul_hi_u32 v3, v10, v3
	v_mul_lo_u32 v11, v3, s42
	s_delay_alu instid0(VALU_DEP_1) | instskip(SKIP_1) | instid1(VALU_DEP_2)
	v_sub_nc_u32_e32 v10, v10, v11
	v_add_nc_u32_e32 v11, 1, v3
	v_subrev_nc_u32_e32 v20, s42, v10
	v_cmp_le_u32_e32 vcc_lo, s42, v10
	s_delay_alu instid0(VALU_DEP_2) | instskip(NEXT) | instid1(VALU_DEP_1)
	v_dual_cndmask_b32 v10, v10, v20 :: v_dual_cndmask_b32 v3, v3, v11
	v_cmp_le_u32_e32 vcc_lo, s42, v10
	s_delay_alu instid0(VALU_DEP_2) | instskip(NEXT) | instid1(VALU_DEP_1)
	v_add_nc_u32_e32 v11, 1, v3
	v_cndmask_b32_e32 v20, v3, v11, vcc_lo
.LBB3_25:                               ;   in Loop: Header=BB3_4 Depth=1
	s_or_b32 exec_lo, exec_lo, s0
	s_delay_alu instid0(VALU_DEP_1)
	v_add_nc_u64_e32 v[10:11], 1, v[20:21]
.LBB3_26:                               ;   in Loop: Header=BB3_4 Depth=1
	s_or_b32 exec_lo, exec_lo, s1
	v_or_b32_e32 v3, s43, v19
                                        ; implicit-def: $vgpr24_vgpr25
	s_mov_b32 s0, exec_lo
	s_delay_alu instid0(VALU_DEP_1)
	v_cmpx_ne_u64_e32 0, v[2:3]
	s_xor_b32 s1, exec_lo, s0
	s_cbranch_execz .LBB3_28
; %bb.27:                               ;   in Loop: Header=BB3_4 Depth=1
	s_ashr_i32 s60, s43, 31
	v_dual_mov_b32 v23, v2 :: v_dual_ashrrev_i32 v20, 31, v19
	s_mov_b32 s61, s60
	v_mov_b32_e32 v31, v2
	s_add_nc_u64 s[62:63], s[42:43], s[60:61]
	s_delay_alu instid0(VALU_DEP_2) | instskip(SKIP_1) | instid1(SALU_CYCLE_1)
	v_mov_b32_e32 v21, v20
	s_xor_b64 s[62:63], s[62:63], s[60:61]
	s_cvt_f32_u32 s0, s62
	s_cvt_f32_u32 s2, s63
	s_sub_nc_u64 s[66:67], 0, s[62:63]
	v_add_nc_u64_e32 v[18:19], v[18:19], v[20:21]
	v_mov_b32_e32 v27, v2
	s_fmamk_f32 s0, s2, 0x4f800000, s0
	s_delay_alu instid0(SALU_CYCLE_3) | instskip(NEXT) | instid1(VALU_DEP_2)
	v_s_rcp_f32 s0, s0
	v_xor_b32_e32 v22, v18, v20
	s_delay_alu instid0(VALU_DEP_3) | instskip(NEXT) | instid1(TRANS32_DEP_1)
	v_xor_b32_e32 v26, v19, v20
	s_mul_f32 s0, s0, 0x5f7ffffc
	s_delay_alu instid0(SALU_CYCLE_3) | instskip(NEXT) | instid1(SALU_CYCLE_3)
	s_mul_f32 s2, s0, 0x2f800000
	s_trunc_f32 s2, s2
	s_delay_alu instid0(SALU_CYCLE_3) | instskip(SKIP_1) | instid1(SALU_CYCLE_2)
	s_fmamk_f32 s0, s2, 0xcf800000, s0
	s_cvt_u32_f32 s65, s2
	s_cvt_u32_f32 s64, s0
	s_delay_alu instid0(SALU_CYCLE_3) | instskip(NEXT) | instid1(SALU_CYCLE_1)
	s_mul_u64 s[68:69], s[66:67], s[64:65]
	s_mul_hi_u32 s71, s64, s69
	s_mul_i32 s70, s64, s69
	s_mul_hi_u32 s2, s64, s68
	s_mul_i32 s31, s65, s68
	s_add_nc_u64 s[70:71], s[2:3], s[70:71]
	s_mul_hi_u32 s0, s65, s68
	s_mul_hi_u32 s61, s65, s69
	s_add_co_u32 s2, s70, s31
	s_add_co_ci_u32 s2, s71, s0
	s_mul_i32 s68, s65, s69
	s_add_co_ci_u32 s69, s61, 0
	s_delay_alu instid0(SALU_CYCLE_1) | instskip(NEXT) | instid1(SALU_CYCLE_1)
	s_add_nc_u64 s[68:69], s[2:3], s[68:69]
	s_add_co_u32 s64, s64, s68
	s_cselect_b32 s0, -1, 0
	s_delay_alu instid0(SALU_CYCLE_1) | instskip(SKIP_1) | instid1(SALU_CYCLE_1)
	s_cmp_lg_u32 s0, 0
	s_add_co_ci_u32 s65, s65, s69
	s_mul_u64 s[66:67], s[66:67], s[64:65]
	s_delay_alu instid0(SALU_CYCLE_1)
	s_mul_hi_u32 s69, s64, s67
	s_mul_i32 s68, s64, s67
	s_mul_hi_u32 s2, s64, s66
	s_mul_i32 s31, s65, s66
	s_add_nc_u64 s[68:69], s[2:3], s[68:69]
	s_mul_hi_u32 s0, s65, s66
	s_mul_hi_u32 s61, s65, s67
	s_add_co_u32 s2, s68, s31
	s_add_co_ci_u32 s2, s69, s0
	s_mul_i32 s66, s65, s67
	s_add_co_ci_u32 s67, s61, 0
	s_delay_alu instid0(SALU_CYCLE_1) | instskip(NEXT) | instid1(SALU_CYCLE_1)
	s_add_nc_u64 s[66:67], s[2:3], s[66:67]
	s_add_co_u32 s0, s64, s66
	s_cselect_b32 s2, -1, 0
	v_mul_hi_u32 v30, v22, s0
	s_cmp_lg_u32 s2, 0
	s_add_co_ci_u32 s2, s65, s67
	s_and_b64 s[64:65], s[0:1], s[28:29]
	v_mul_u64_e32 v[24:25], s[2:3], v[22:23]
	v_mul_u64_e32 v[18:19], s[64:65], v[26:27]
	;; [unrolled: 1-line block ×3, first 2 shown]
	s_delay_alu instid0(VALU_DEP_3) | instskip(NEXT) | instid1(VALU_DEP_1)
	v_add_nc_u64_e32 v[24:25], v[30:31], v[24:25]
	v_add_co_u32 v3, vcc_lo, v24, v18
	s_delay_alu instid0(VALU_DEP_2) | instskip(NEXT) | instid1(VALU_DEP_4)
	v_add_co_ci_u32_e32 v30, vcc_lo, v25, v19, vcc_lo
	v_add_co_ci_u32_e32 v29, vcc_lo, 0, v29, vcc_lo
	s_delay_alu instid0(VALU_DEP_1) | instskip(NEXT) | instid1(VALU_DEP_1)
	v_add_nc_u64_e32 v[18:19], v[30:31], v[28:29]
	v_mul_u64_e32 v[24:25], s[62:63], v[18:19]
	s_delay_alu instid0(VALU_DEP_1) | instskip(NEXT) | instid1(VALU_DEP_2)
	v_sub_nc_u32_e32 v3, v26, v25
	v_sub_co_u32 v21, vcc_lo, v22, v24
	s_delay_alu instid0(VALU_DEP_1) | instskip(NEXT) | instid1(VALU_DEP_3)
	v_sub_co_ci_u32_e64 v26, null, v26, v25, vcc_lo
	v_subrev_co_ci_u32_e64 v3, null, s63, v3, vcc_lo
	s_delay_alu instid0(VALU_DEP_3) | instskip(SKIP_1) | instid1(VALU_DEP_3)
	v_sub_co_u32 v22, s0, v21, s62
	v_add_nc_u64_e32 v[24:25], 1, v[18:19]
	v_subrev_co_ci_u32_e64 v3, null, 0, v3, s0
	s_delay_alu instid0(VALU_DEP_3) | instskip(SKIP_1) | instid1(VALU_DEP_3)
	v_cmp_le_u32_e32 vcc_lo, s62, v22
	v_cndmask_b32_e64 v22, 0, -1, vcc_lo
	v_cmp_le_u32_e32 vcc_lo, s63, v3
	v_cndmask_b32_e64 v23, 0, -1, vcc_lo
	;; [unrolled: 2-line block ×4, first 2 shown]
	v_cmp_eq_u32_e32 vcc_lo, s63, v3
	v_cndmask_b32_e32 v3, v23, v22, vcc_lo
	v_cmp_eq_u32_e32 vcc_lo, s63, v26
	v_add_nc_u64_e32 v[22:23], 2, v[18:19]
	v_cndmask_b32_e32 v21, v27, v21, vcc_lo
	s_delay_alu instid0(VALU_DEP_4) | instskip(NEXT) | instid1(VALU_DEP_3)
	v_cmp_ne_u32_e32 vcc_lo, 0, v3
	v_cndmask_b32_e32 v3, v25, v23, vcc_lo
	s_delay_alu instid0(VALU_DEP_3) | instskip(SKIP_1) | instid1(VALU_DEP_1)
	v_cmp_ne_u32_e64 s0, 0, v21
	v_dual_cndmask_b32 v21, v24, v22, vcc_lo :: v_dual_bitop2_b32 v20, s60, v20 bitop3:0x14
	v_dual_cndmask_b32 v3, v19, v3, s0 :: v_dual_cndmask_b32 v18, v18, v21, s0
	s_delay_alu instid0(VALU_DEP_1) | instskip(NEXT) | instid1(VALU_DEP_2)
	v_dual_mov_b32 v21, v20 :: v_dual_bitop2_b32 v19, v3, v20 bitop3:0x14
	v_xor_b32_e32 v18, v18, v20
	s_delay_alu instid0(VALU_DEP_1)
	v_sub_nc_u64_e32 v[24:25], v[18:19], v[20:21]
                                        ; implicit-def: $vgpr18_vgpr19
.LBB3_28:                               ;   in Loop: Header=BB3_4 Depth=1
	s_and_not1_saveexec_b32 s0, s1
	s_cbranch_execz .LBB3_30
; %bb.29:                               ;   in Loop: Header=BB3_4 Depth=1
	v_cvt_f32_u32_e32 v3, s42
	s_sub_co_i32 s1, 0, s42
	v_mov_b32_e32 v25, v2
	s_delay_alu instid0(VALU_DEP_2) | instskip(SKIP_1) | instid1(TRANS32_DEP_1)
	v_rcp_iflag_f32_e32 v3, v3
	v_nop
	v_mul_f32_e32 v3, 0x4f7ffffe, v3
	s_delay_alu instid0(VALU_DEP_1) | instskip(NEXT) | instid1(VALU_DEP_1)
	v_cvt_u32_f32_e32 v3, v3
	v_mul_lo_u32 v19, s1, v3
	s_delay_alu instid0(VALU_DEP_1) | instskip(NEXT) | instid1(VALU_DEP_1)
	v_mul_hi_u32 v19, v3, v19
	v_add_nc_u32_e32 v3, v3, v19
	s_delay_alu instid0(VALU_DEP_1) | instskip(NEXT) | instid1(VALU_DEP_1)
	v_mul_hi_u32 v3, v18, v3
	v_mul_lo_u32 v19, v3, s42
	s_delay_alu instid0(VALU_DEP_1) | instskip(SKIP_1) | instid1(VALU_DEP_2)
	v_sub_nc_u32_e32 v18, v18, v19
	v_add_nc_u32_e32 v19, 1, v3
	v_subrev_nc_u32_e32 v20, s42, v18
	v_cmp_le_u32_e32 vcc_lo, s42, v18
	s_delay_alu instid0(VALU_DEP_2) | instskip(NEXT) | instid1(VALU_DEP_1)
	v_dual_cndmask_b32 v18, v18, v20 :: v_dual_cndmask_b32 v3, v3, v19
	v_cmp_le_u32_e32 vcc_lo, s42, v18
	s_delay_alu instid0(VALU_DEP_2) | instskip(NEXT) | instid1(VALU_DEP_1)
	v_add_nc_u32_e32 v19, 1, v3
	v_cndmask_b32_e32 v24, v3, v19, vcc_lo
.LBB3_30:                               ;   in Loop: Header=BB3_4 Depth=1
	s_or_b32 exec_lo, exec_lo, s0
	v_add_nc_u64_e32 v[12:13], s[36:37], v[12:13]
	v_mov_b64_e32 v[18:19], 0
	s_mov_b32 s1, exec_lo
	s_delay_alu instid0(VALU_DEP_2)
	v_cmpx_lt_i64_e64 s[52:53], v[12:13]
	s_cbranch_execz .LBB3_36
; %bb.31:                               ;   in Loop: Header=BB3_4 Depth=1
	v_add_nc_u64_e32 v[18:19], s[56:57], v[12:13]
                                        ; implicit-def: $vgpr20_vgpr21
	s_mov_b32 s0, exec_lo
	s_delay_alu instid0(VALU_DEP_1) | instskip(NEXT) | instid1(VALU_DEP_1)
	v_or_b32_e32 v3, s41, v19
	v_cmpx_ne_u64_e32 0, v[2:3]
	s_xor_b32 s31, exec_lo, s0
	s_cbranch_execz .LBB3_33
; %bb.32:                               ;   in Loop: Header=BB3_4 Depth=1
	s_ashr_i32 s60, s41, 31
	v_dual_mov_b32 v23, v2 :: v_dual_ashrrev_i32 v20, 31, v19
	s_mov_b32 s61, s60
	s_delay_alu instid0(SALU_CYCLE_1) | instskip(NEXT) | instid1(VALU_DEP_1)
	s_add_nc_u64 s[62:63], s[40:41], s[60:61]
	v_mov_b32_e32 v21, v20
	s_xor_b64 s[62:63], s[62:63], s[60:61]
	s_delay_alu instid0(SALU_CYCLE_1)
	s_cvt_f32_u32 s0, s62
	s_cvt_f32_u32 s2, s63
	s_sub_nc_u64 s[66:67], 0, s[62:63]
	v_add_nc_u64_e32 v[18:19], v[18:19], v[20:21]
	v_mov_b32_e32 v29, v2
	s_fmamk_f32 s0, s2, 0x4f800000, s0
	s_delay_alu instid0(SALU_CYCLE_3) | instskip(NEXT) | instid1(VALU_DEP_2)
	v_s_rcp_f32 s0, s0
	v_xor_b32_e32 v22, v18, v20
	s_delay_alu instid0(VALU_DEP_3) | instskip(NEXT) | instid1(TRANS32_DEP_1)
	v_dual_mov_b32 v33, v2 :: v_dual_bitop2_b32 v28, v19, v20 bitop3:0x14
	s_mul_f32 s0, s0, 0x5f7ffffc
	s_delay_alu instid0(SALU_CYCLE_3) | instskip(NEXT) | instid1(SALU_CYCLE_3)
	s_mul_f32 s2, s0, 0x2f800000
	s_trunc_f32 s2, s2
	s_delay_alu instid0(SALU_CYCLE_3) | instskip(SKIP_1) | instid1(SALU_CYCLE_2)
	s_fmamk_f32 s0, s2, 0xcf800000, s0
	s_cvt_u32_f32 s65, s2
	s_cvt_u32_f32 s64, s0
	s_delay_alu instid0(SALU_CYCLE_3) | instskip(NEXT) | instid1(SALU_CYCLE_1)
	s_mul_u64 s[68:69], s[66:67], s[64:65]
	s_mul_hi_u32 s71, s64, s69
	s_mul_i32 s70, s64, s69
	s_mul_hi_u32 s2, s64, s68
	s_mul_i32 s61, s65, s68
	s_add_nc_u64 s[70:71], s[2:3], s[70:71]
	s_mul_hi_u32 s0, s65, s68
	s_mul_hi_u32 s72, s65, s69
	s_add_co_u32 s2, s70, s61
	s_add_co_ci_u32 s2, s71, s0
	s_mul_i32 s68, s65, s69
	s_add_co_ci_u32 s69, s72, 0
	s_delay_alu instid0(SALU_CYCLE_1) | instskip(NEXT) | instid1(SALU_CYCLE_1)
	s_add_nc_u64 s[68:69], s[2:3], s[68:69]
	s_add_co_u32 s64, s64, s68
	s_cselect_b32 s0, -1, 0
	s_delay_alu instid0(SALU_CYCLE_1) | instskip(SKIP_1) | instid1(SALU_CYCLE_1)
	s_cmp_lg_u32 s0, 0
	s_add_co_ci_u32 s65, s65, s69
	s_mul_u64 s[66:67], s[66:67], s[64:65]
	s_delay_alu instid0(SALU_CYCLE_1)
	s_mul_hi_u32 s69, s64, s67
	s_mul_i32 s68, s64, s67
	s_mul_hi_u32 s2, s64, s66
	s_mul_i32 s61, s65, s66
	s_add_nc_u64 s[68:69], s[2:3], s[68:69]
	s_mul_hi_u32 s0, s65, s66
	s_mul_hi_u32 s70, s65, s67
	s_add_co_u32 s2, s68, s61
	s_add_co_ci_u32 s2, s69, s0
	s_mul_i32 s66, s65, s67
	s_add_co_ci_u32 s67, s70, 0
	s_delay_alu instid0(SALU_CYCLE_1) | instskip(NEXT) | instid1(SALU_CYCLE_1)
	s_add_nc_u64 s[66:67], s[2:3], s[66:67]
	s_add_co_u32 s0, s64, s66
	s_cselect_b32 s2, -1, 0
	v_mul_hi_u32 v32, v22, s0
	s_cmp_lg_u32 s2, 0
	s_add_co_ci_u32 s2, s65, s67
	s_and_b64 s[64:65], s[0:1], s[28:29]
	v_mul_u64_e32 v[26:27], s[2:3], v[22:23]
	v_mul_u64_e32 v[18:19], s[64:65], v[28:29]
	;; [unrolled: 1-line block ×3, first 2 shown]
	s_delay_alu instid0(VALU_DEP_3) | instskip(NEXT) | instid1(VALU_DEP_1)
	v_add_nc_u64_e32 v[26:27], v[32:33], v[26:27]
	v_add_co_u32 v3, vcc_lo, v26, v18
	s_delay_alu instid0(VALU_DEP_2) | instskip(NEXT) | instid1(VALU_DEP_4)
	v_add_co_ci_u32_e32 v32, vcc_lo, v27, v19, vcc_lo
	v_add_co_ci_u32_e32 v31, vcc_lo, 0, v31, vcc_lo
	s_delay_alu instid0(VALU_DEP_1) | instskip(NEXT) | instid1(VALU_DEP_1)
	v_add_nc_u64_e32 v[18:19], v[32:33], v[30:31]
	v_mul_u64_e32 v[26:27], s[62:63], v[18:19]
	s_delay_alu instid0(VALU_DEP_1) | instskip(NEXT) | instid1(VALU_DEP_2)
	v_sub_nc_u32_e32 v3, v28, v27
	v_sub_co_u32 v21, vcc_lo, v22, v26
	s_delay_alu instid0(VALU_DEP_1) | instskip(NEXT) | instid1(VALU_DEP_3)
	v_sub_co_ci_u32_e64 v28, null, v28, v27, vcc_lo
	v_subrev_co_ci_u32_e64 v3, null, s63, v3, vcc_lo
	s_delay_alu instid0(VALU_DEP_3) | instskip(SKIP_1) | instid1(VALU_DEP_3)
	v_sub_co_u32 v22, s0, v21, s62
	v_add_nc_u64_e32 v[26:27], 1, v[18:19]
	v_subrev_co_ci_u32_e64 v3, null, 0, v3, s0
	s_delay_alu instid0(VALU_DEP_3) | instskip(SKIP_1) | instid1(VALU_DEP_3)
	v_cmp_le_u32_e32 vcc_lo, s62, v22
	v_cndmask_b32_e64 v22, 0, -1, vcc_lo
	v_cmp_le_u32_e32 vcc_lo, s63, v3
	v_cndmask_b32_e64 v23, 0, -1, vcc_lo
	;; [unrolled: 2-line block ×4, first 2 shown]
	v_cmp_eq_u32_e32 vcc_lo, s63, v3
	v_cndmask_b32_e32 v3, v23, v22, vcc_lo
	v_cmp_eq_u32_e32 vcc_lo, s63, v28
	v_add_nc_u64_e32 v[22:23], 2, v[18:19]
	v_cndmask_b32_e32 v21, v29, v21, vcc_lo
	s_delay_alu instid0(VALU_DEP_4) | instskip(NEXT) | instid1(VALU_DEP_2)
	v_cmp_ne_u32_e32 vcc_lo, 0, v3
	v_cmp_ne_u32_e64 s0, 0, v21
	s_delay_alu instid0(VALU_DEP_4) | instskip(NEXT) | instid1(VALU_DEP_1)
	v_dual_cndmask_b32 v3, v27, v23, vcc_lo :: v_dual_cndmask_b32 v21, v26, v22, vcc_lo
	v_dual_cndmask_b32 v3, v19, v3, s0 :: v_dual_bitop2_b32 v20, s60, v20 bitop3:0x14
	s_delay_alu instid0(VALU_DEP_1) | instskip(NEXT) | instid1(VALU_DEP_2)
	v_dual_cndmask_b32 v18, v18, v21, s0 :: v_dual_mov_b32 v21, v20
	v_xor_b32_e32 v19, v3, v20
	s_delay_alu instid0(VALU_DEP_2) | instskip(NEXT) | instid1(VALU_DEP_1)
	v_xor_b32_e32 v18, v18, v20
	v_sub_nc_u64_e32 v[20:21], v[18:19], v[20:21]
                                        ; implicit-def: $vgpr18_vgpr19
.LBB3_33:                               ;   in Loop: Header=BB3_4 Depth=1
	s_and_not1_saveexec_b32 s0, s31
	s_cbranch_execz .LBB3_35
; %bb.34:                               ;   in Loop: Header=BB3_4 Depth=1
	v_cvt_f32_u32_e32 v3, s40
	s_sub_co_i32 s2, 0, s40
	v_mov_b32_e32 v21, v2
	s_delay_alu instid0(VALU_DEP_2) | instskip(SKIP_1) | instid1(TRANS32_DEP_1)
	v_rcp_iflag_f32_e32 v3, v3
	v_nop
	v_mul_f32_e32 v3, 0x4f7ffffe, v3
	s_delay_alu instid0(VALU_DEP_1) | instskip(NEXT) | instid1(VALU_DEP_1)
	v_cvt_u32_f32_e32 v3, v3
	v_mul_lo_u32 v19, s2, v3
	s_delay_alu instid0(VALU_DEP_1) | instskip(NEXT) | instid1(VALU_DEP_1)
	v_mul_hi_u32 v19, v3, v19
	v_add_nc_u32_e32 v3, v3, v19
	s_delay_alu instid0(VALU_DEP_1) | instskip(NEXT) | instid1(VALU_DEP_1)
	v_mul_hi_u32 v3, v18, v3
	v_mul_lo_u32 v19, v3, s40
	s_delay_alu instid0(VALU_DEP_1) | instskip(SKIP_1) | instid1(VALU_DEP_2)
	v_sub_nc_u32_e32 v18, v18, v19
	v_add_nc_u32_e32 v19, 1, v3
	v_subrev_nc_u32_e32 v20, s40, v18
	v_cmp_le_u32_e32 vcc_lo, s40, v18
	s_delay_alu instid0(VALU_DEP_2) | instskip(NEXT) | instid1(VALU_DEP_1)
	v_dual_cndmask_b32 v18, v18, v20 :: v_dual_cndmask_b32 v3, v3, v19
	v_cmp_le_u32_e32 vcc_lo, s40, v18
	s_delay_alu instid0(VALU_DEP_2) | instskip(NEXT) | instid1(VALU_DEP_1)
	v_add_nc_u32_e32 v19, 1, v3
	v_cndmask_b32_e32 v20, v3, v19, vcc_lo
.LBB3_35:                               ;   in Loop: Header=BB3_4 Depth=1
	s_or_b32 exec_lo, exec_lo, s0
	s_delay_alu instid0(VALU_DEP_1)
	v_add_nc_u64_e32 v[18:19], 1, v[20:21]
.LBB3_36:                               ;   in Loop: Header=BB3_4 Depth=1
	s_or_b32 exec_lo, exec_lo, s1
	v_or_b32_e32 v3, s41, v13
                                        ; implicit-def: $vgpr20_vgpr21
	s_mov_b32 s0, exec_lo
	s_delay_alu instid0(VALU_DEP_1)
	v_cmpx_ne_u64_e32 0, v[2:3]
	s_xor_b32 s1, exec_lo, s0
	s_cbranch_execz .LBB3_38
; %bb.37:                               ;   in Loop: Header=BB3_4 Depth=1
	s_ashr_i32 s60, s41, 31
	v_dual_mov_b32 v27, v2 :: v_dual_ashrrev_i32 v20, 31, v13
	s_mov_b32 s61, s60
	v_mov_b32_e32 v35, v2
	s_add_nc_u64 s[62:63], s[40:41], s[60:61]
	s_delay_alu instid0(VALU_DEP_2) | instskip(SKIP_1) | instid1(SALU_CYCLE_1)
	v_mov_b32_e32 v21, v20
	s_xor_b64 s[62:63], s[62:63], s[60:61]
	s_cvt_f32_u32 s0, s62
	s_cvt_f32_u32 s2, s63
	s_sub_nc_u64 s[66:67], 0, s[62:63]
	v_add_nc_u64_e32 v[22:23], v[12:13], v[20:21]
	v_mov_b32_e32 v31, v2
	s_fmamk_f32 s0, s2, 0x4f800000, s0
	s_delay_alu instid0(SALU_CYCLE_3) | instskip(NEXT) | instid1(VALU_DEP_2)
	v_s_rcp_f32 s0, s0
	v_xor_b32_e32 v26, v22, v20
	s_delay_alu instid0(VALU_DEP_3) | instskip(NEXT) | instid1(TRANS32_DEP_1)
	v_xor_b32_e32 v30, v23, v20
	s_mul_f32 s0, s0, 0x5f7ffffc
	s_delay_alu instid0(SALU_CYCLE_3) | instskip(NEXT) | instid1(SALU_CYCLE_3)
	s_mul_f32 s2, s0, 0x2f800000
	s_trunc_f32 s2, s2
	s_delay_alu instid0(SALU_CYCLE_3) | instskip(SKIP_1) | instid1(SALU_CYCLE_2)
	s_fmamk_f32 s0, s2, 0xcf800000, s0
	s_cvt_u32_f32 s65, s2
	s_cvt_u32_f32 s64, s0
	s_delay_alu instid0(SALU_CYCLE_3) | instskip(NEXT) | instid1(SALU_CYCLE_1)
	s_mul_u64 s[68:69], s[66:67], s[64:65]
	s_mul_hi_u32 s71, s64, s69
	s_mul_i32 s70, s64, s69
	s_mul_hi_u32 s2, s64, s68
	s_mul_i32 s31, s65, s68
	s_add_nc_u64 s[70:71], s[2:3], s[70:71]
	s_mul_hi_u32 s0, s65, s68
	s_mul_hi_u32 s61, s65, s69
	s_add_co_u32 s2, s70, s31
	s_add_co_ci_u32 s2, s71, s0
	s_mul_i32 s68, s65, s69
	s_add_co_ci_u32 s69, s61, 0
	s_delay_alu instid0(SALU_CYCLE_1) | instskip(NEXT) | instid1(SALU_CYCLE_1)
	s_add_nc_u64 s[68:69], s[2:3], s[68:69]
	s_add_co_u32 s64, s64, s68
	s_cselect_b32 s0, -1, 0
	s_delay_alu instid0(SALU_CYCLE_1) | instskip(SKIP_1) | instid1(SALU_CYCLE_1)
	s_cmp_lg_u32 s0, 0
	s_add_co_ci_u32 s65, s65, s69
	s_mul_u64 s[66:67], s[66:67], s[64:65]
	s_delay_alu instid0(SALU_CYCLE_1)
	s_mul_hi_u32 s69, s64, s67
	s_mul_i32 s68, s64, s67
	s_mul_hi_u32 s2, s64, s66
	s_mul_i32 s31, s65, s66
	s_add_nc_u64 s[68:69], s[2:3], s[68:69]
	s_mul_hi_u32 s0, s65, s66
	s_mul_hi_u32 s61, s65, s67
	s_add_co_u32 s2, s68, s31
	s_add_co_ci_u32 s2, s69, s0
	s_mul_i32 s66, s65, s67
	s_add_co_ci_u32 s67, s61, 0
	s_delay_alu instid0(SALU_CYCLE_1) | instskip(NEXT) | instid1(SALU_CYCLE_1)
	s_add_nc_u64 s[66:67], s[2:3], s[66:67]
	s_add_co_u32 s0, s64, s66
	s_cselect_b32 s2, -1, 0
	v_mul_hi_u32 v34, v26, s0
	s_cmp_lg_u32 s2, 0
	s_add_co_ci_u32 s2, s65, s67
	s_and_b64 s[64:65], s[0:1], s[28:29]
	v_mul_u64_e32 v[28:29], s[2:3], v[26:27]
	v_mul_u64_e32 v[22:23], s[64:65], v[30:31]
	;; [unrolled: 1-line block ×3, first 2 shown]
	s_delay_alu instid0(VALU_DEP_3) | instskip(NEXT) | instid1(VALU_DEP_1)
	v_add_nc_u64_e32 v[28:29], v[34:35], v[28:29]
	v_add_co_u32 v3, vcc_lo, v28, v22
	s_delay_alu instid0(VALU_DEP_2) | instskip(NEXT) | instid1(VALU_DEP_4)
	v_add_co_ci_u32_e32 v34, vcc_lo, v29, v23, vcc_lo
	v_add_co_ci_u32_e32 v33, vcc_lo, 0, v33, vcc_lo
	s_delay_alu instid0(VALU_DEP_1) | instskip(NEXT) | instid1(VALU_DEP_1)
	v_add_nc_u64_e32 v[22:23], v[34:35], v[32:33]
	v_mul_u64_e32 v[28:29], s[62:63], v[22:23]
	s_delay_alu instid0(VALU_DEP_1) | instskip(NEXT) | instid1(VALU_DEP_2)
	v_sub_nc_u32_e32 v3, v30, v29
	v_sub_co_u32 v21, vcc_lo, v26, v28
	s_delay_alu instid0(VALU_DEP_1) | instskip(NEXT) | instid1(VALU_DEP_3)
	v_sub_co_ci_u32_e64 v30, null, v30, v29, vcc_lo
	v_subrev_co_ci_u32_e64 v3, null, s63, v3, vcc_lo
	s_delay_alu instid0(VALU_DEP_3) | instskip(SKIP_1) | instid1(VALU_DEP_3)
	v_sub_co_u32 v26, s0, v21, s62
	v_add_nc_u64_e32 v[28:29], 1, v[22:23]
	v_subrev_co_ci_u32_e64 v3, null, 0, v3, s0
	s_delay_alu instid0(VALU_DEP_3) | instskip(SKIP_1) | instid1(VALU_DEP_3)
	v_cmp_le_u32_e32 vcc_lo, s62, v26
	v_cndmask_b32_e64 v26, 0, -1, vcc_lo
	v_cmp_le_u32_e32 vcc_lo, s63, v3
	v_cndmask_b32_e64 v27, 0, -1, vcc_lo
	;; [unrolled: 2-line block ×4, first 2 shown]
	v_cmp_eq_u32_e32 vcc_lo, s63, v3
	v_cndmask_b32_e32 v3, v27, v26, vcc_lo
	v_cmp_eq_u32_e32 vcc_lo, s63, v30
	v_add_nc_u64_e32 v[26:27], 2, v[22:23]
	v_cndmask_b32_e32 v21, v31, v21, vcc_lo
	s_delay_alu instid0(VALU_DEP_4) | instskip(NEXT) | instid1(VALU_DEP_3)
	v_cmp_ne_u32_e32 vcc_lo, 0, v3
	v_cndmask_b32_e32 v3, v29, v27, vcc_lo
	s_delay_alu instid0(VALU_DEP_3) | instskip(SKIP_1) | instid1(VALU_DEP_1)
	v_cmp_ne_u32_e64 s0, 0, v21
	v_dual_cndmask_b32 v21, v28, v26, vcc_lo :: v_dual_bitop2_b32 v20, s60, v20 bitop3:0x14
	v_dual_cndmask_b32 v3, v23, v3, s0 :: v_dual_cndmask_b32 v22, v22, v21, s0
	s_delay_alu instid0(VALU_DEP_1) | instskip(NEXT) | instid1(VALU_DEP_2)
	v_dual_mov_b32 v21, v20 :: v_dual_bitop2_b32 v23, v3, v20 bitop3:0x14
	v_xor_b32_e32 v22, v22, v20
	s_delay_alu instid0(VALU_DEP_1)
	v_sub_nc_u64_e32 v[20:21], v[22:23], v[20:21]
.LBB3_38:                               ;   in Loop: Header=BB3_4 Depth=1
	s_and_not1_saveexec_b32 s0, s1
	s_cbranch_execz .LBB3_40
; %bb.39:                               ;   in Loop: Header=BB3_4 Depth=1
	v_cvt_f32_u32_e32 v3, s40
	s_sub_co_i32 s1, 0, s40
	s_delay_alu instid0(VALU_DEP_1) | instskip(SKIP_1) | instid1(TRANS32_DEP_1)
	v_rcp_iflag_f32_e32 v3, v3
	v_nop
	v_mul_f32_e32 v3, 0x4f7ffffe, v3
	s_delay_alu instid0(VALU_DEP_1) | instskip(NEXT) | instid1(VALU_DEP_1)
	v_cvt_u32_f32_e32 v3, v3
	v_mul_lo_u32 v20, s1, v3
	s_delay_alu instid0(VALU_DEP_1) | instskip(NEXT) | instid1(VALU_DEP_1)
	v_mul_hi_u32 v20, v3, v20
	v_add_nc_u32_e32 v3, v3, v20
	s_delay_alu instid0(VALU_DEP_1) | instskip(NEXT) | instid1(VALU_DEP_1)
	v_mul_hi_u32 v3, v12, v3
	v_mul_lo_u32 v20, v3, s40
	s_delay_alu instid0(VALU_DEP_1) | instskip(NEXT) | instid1(VALU_DEP_1)
	v_dual_add_nc_u32 v21, 1, v3 :: v_dual_sub_nc_u32 v20, v12, v20
	v_subrev_nc_u32_e32 v22, s40, v20
	v_cmp_le_u32_e32 vcc_lo, s40, v20
	s_delay_alu instid0(VALU_DEP_2) | instskip(NEXT) | instid1(VALU_DEP_1)
	v_dual_cndmask_b32 v20, v20, v22 :: v_dual_cndmask_b32 v3, v3, v21
	v_cmp_le_u32_e32 vcc_lo, s40, v20
	s_delay_alu instid0(VALU_DEP_2) | instskip(NEXT) | instid1(VALU_DEP_1)
	v_add_nc_u32_e32 v21, 1, v3
	v_dual_cndmask_b32 v20, v3, v21 :: v_dual_mov_b32 v21, v2
.LBB3_40:                               ;   in Loop: Header=BB3_4 Depth=1
	s_or_b32 exec_lo, exec_lo, s0
	s_delay_alu instid0(VALU_DEP_1) | instskip(SKIP_2) | instid1(VALU_DEP_2)
	v_add_nc_u64_e32 v[20:21], 1, v[20:21]
	v_mov_b64_e32 v[22:23], 0
	s_mov_b32 s31, exec_lo
	v_min_i64 v[20:21], v[20:21], s[48:49]
	s_delay_alu instid0(VALU_DEP_1)
	v_cmpx_lt_i64_e64 v[18:19], v[20:21]
	s_cbranch_execz .LBB3_3
; %bb.41:                               ;   in Loop: Header=BB3_4 Depth=1
	v_mul_u64_e32 v[22:23], s[42:43], v[10:11]
	v_lshlrev_b64_e32 v[26:27], 3, v[10:11]
	v_add_nc_u64_e32 v[24:25], 1, v[24:25]
	v_mul_u64_e32 v[14:15], s[16:17], v[14:15]
	v_add_nc_u64_e32 v[28:29], s[38:39], v[0:1]
	s_mov_b32 s64, 0
	s_delay_alu instid0(VALU_DEP_4) | instskip(NEXT) | instid1(VALU_DEP_4)
	v_mad_nc_u64_u32 v[26:27], s8, v4, v[26:27]
	v_min_i64 v[24:25], v[24:25], s[50:51]
	s_delay_alu instid0(VALU_DEP_2) | instskip(NEXT) | instid1(VALU_DEP_1)
	v_mad_u32 v3, s9, v4, v27
	v_mad_u32 v27, s8, v5, v3
	v_sub_nc_u64_e32 v[22:23], v[28:29], v[22:23]
	s_delay_alu instid0(VALU_DEP_1) | instskip(SKIP_1) | instid1(VALU_DEP_4)
	v_sub_nc_u64_e32 v[22:23], v[22:23], v[16:17]
	v_cmp_lt_i64_e64 s0, v[10:11], v[24:25]
	v_add_nc_u64_e32 v[16:17], s[6:7], v[26:27]
	s_delay_alu instid0(VALU_DEP_3)
	v_sub_nc_u64_e32 v[8:9], v[22:23], v[8:9]
	v_mov_b64_e32 v[22:23], 0
	s_branch .LBB3_44
.LBB3_42:                               ;   in Loop: Header=BB3_44 Depth=2
	s_or_b32 exec_lo, exec_lo, s66
.LBB3_43:                               ;   in Loop: Header=BB3_44 Depth=2
	s_delay_alu instid0(SALU_CYCLE_1) | instskip(SKIP_1) | instid1(VALU_DEP_1)
	s_or_b32 exec_lo, exec_lo, s65
	v_add_nc_u64_e32 v[18:19], 1, v[18:19]
	v_cmp_ge_i64_e32 vcc_lo, v[18:19], v[20:21]
	s_or_b32 s64, vcc_lo, s64
	s_delay_alu instid0(SALU_CYCLE_1)
	s_and_not1_b32 exec_lo, exec_lo, s64
	s_cbranch_execz .LBB3_2
.LBB3_44:                               ;   Parent Loop BB3_4 Depth=1
                                        ; =>  This Loop Header: Depth=2
                                        ;       Child Loop BB3_52 Depth 3
	s_delay_alu instid0(VALU_DEP_4)
	s_and_saveexec_b32 s65, s0
	s_cbranch_execz .LBB3_43
; %bb.45:                               ;   in Loop: Header=BB3_44 Depth=2
	v_mul_u64_e32 v[26:27], s[40:41], v[18:19]
	s_mov_b32 s1, exec_lo
	s_delay_alu instid0(VALU_DEP_1) | instskip(NEXT) | instid1(VALU_DEP_1)
	v_sub_nc_u64_e32 v[28:29], v[12:13], v[26:27]
                                        ; implicit-def: $vgpr26_vgpr27
	v_or_b32_e32 v3, s45, v29
	s_delay_alu instid0(VALU_DEP_1)
	v_cmpx_ne_u64_e32 0, v[2:3]
	s_xor_b32 s66, exec_lo, s1
	s_cbranch_execz .LBB3_47
; %bb.46:                               ;   in Loop: Header=BB3_44 Depth=2
	s_ashr_i32 s60, s45, 31
	v_dual_mov_b32 v33, v2 :: v_dual_ashrrev_i32 v26, 31, v29
	s_mov_b32 s61, s60
	v_mov_b32_e32 v39, v2
	s_add_nc_u64 s[62:63], s[44:45], s[60:61]
	s_delay_alu instid0(VALU_DEP_2)
	v_mov_b32_e32 v27, v26
	s_xor_b64 s[62:63], s[62:63], s[60:61]
	v_mov_b32_e32 v43, v2
	s_cvt_f32_u32 s1, s62
	s_cvt_f32_u32 s2, s63
	s_sub_nc_u64 s[70:71], 0, s[62:63]
	v_add_nc_u64_e32 v[30:31], v[28:29], v[26:27]
	s_delay_alu instid0(SALU_CYCLE_1) | instskip(NEXT) | instid1(SALU_CYCLE_3)
	s_fmamk_f32 s1, s2, 0x4f800000, s1
	v_s_rcp_f32 s1, s1
	s_delay_alu instid0(VALU_DEP_1) | instskip(NEXT) | instid1(VALU_DEP_2)
	v_xor_b32_e32 v32, v30, v26
	v_xor_b32_e32 v38, v31, v26
	;; [unrolled: 1-line block ×3, first 2 shown]
	s_delay_alu instid0(TRANS32_DEP_1) | instskip(NEXT) | instid1(SALU_CYCLE_3)
	s_mul_f32 s1, s1, 0x5f7ffffc
	s_mul_f32 s2, s1, 0x2f800000
	s_delay_alu instid0(SALU_CYCLE_3) | instskip(NEXT) | instid1(SALU_CYCLE_3)
	s_trunc_f32 s2, s2
	s_fmamk_f32 s1, s2, 0xcf800000, s1
	s_cvt_u32_f32 s69, s2
	s_delay_alu instid0(SALU_CYCLE_2) | instskip(NEXT) | instid1(SALU_CYCLE_3)
	s_cvt_u32_f32 s68, s1
	s_mul_u64 s[72:73], s[70:71], s[68:69]
	s_delay_alu instid0(SALU_CYCLE_1)
	s_mul_hi_u32 s75, s68, s73
	s_mul_i32 s74, s68, s73
	s_mul_hi_u32 s2, s68, s72
	s_mul_i32 s61, s69, s72
	s_add_nc_u64 s[74:75], s[2:3], s[74:75]
	s_mul_hi_u32 s1, s69, s72
	s_mul_hi_u32 s67, s69, s73
	s_add_co_u32 s2, s74, s61
	s_add_co_ci_u32 s2, s75, s1
	s_mul_i32 s72, s69, s73
	s_add_co_ci_u32 s73, s67, 0
	s_delay_alu instid0(SALU_CYCLE_1) | instskip(NEXT) | instid1(SALU_CYCLE_1)
	s_add_nc_u64 s[72:73], s[2:3], s[72:73]
	s_add_co_u32 s68, s68, s72
	s_cselect_b32 s1, -1, 0
	s_delay_alu instid0(SALU_CYCLE_1) | instskip(SKIP_1) | instid1(SALU_CYCLE_1)
	s_cmp_lg_u32 s1, 0
	s_add_co_ci_u32 s69, s69, s73
	s_mul_u64 s[70:71], s[70:71], s[68:69]
	s_delay_alu instid0(SALU_CYCLE_1)
	s_mul_hi_u32 s73, s68, s71
	s_mul_i32 s72, s68, s71
	s_mul_hi_u32 s2, s68, s70
	s_mul_i32 s61, s69, s70
	s_add_nc_u64 s[72:73], s[2:3], s[72:73]
	s_mul_hi_u32 s1, s69, s70
	s_mul_hi_u32 s67, s69, s71
	s_add_co_u32 s2, s72, s61
	s_add_co_ci_u32 s2, s73, s1
	s_mul_i32 s70, s69, s71
	s_add_co_ci_u32 s71, s67, 0
	s_delay_alu instid0(SALU_CYCLE_1) | instskip(NEXT) | instid1(SALU_CYCLE_1)
	s_add_nc_u64 s[70:71], s[2:3], s[70:71]
	s_add_co_u32 s68, s68, s70
	s_cselect_b32 s1, -1, 0
	v_mul_hi_u32 v42, v32, s68
	s_cmp_lg_u32 s1, 0
	s_add_co_ci_u32 s2, s69, s71
	s_and_b64 s[70:71], s[68:69], s[28:29]
	v_mul_u64_e32 v[34:35], s[2:3], v[32:33]
	v_mul_u64_e32 v[30:31], s[70:71], v[38:39]
	v_mul_u64_e32 v[40:41], s[2:3], v[38:39]
	s_delay_alu instid0(VALU_DEP_3) | instskip(NEXT) | instid1(VALU_DEP_1)
	v_add_nc_u64_e32 v[34:35], v[42:43], v[34:35]
	v_add_co_u32 v3, vcc_lo, v34, v30
	s_delay_alu instid0(VALU_DEP_2) | instskip(NEXT) | instid1(VALU_DEP_4)
	v_add_co_ci_u32_e32 v42, vcc_lo, v35, v31, vcc_lo
	v_add_co_ci_u32_e32 v41, vcc_lo, 0, v41, vcc_lo
	s_delay_alu instid0(VALU_DEP_1) | instskip(NEXT) | instid1(VALU_DEP_1)
	v_add_nc_u64_e32 v[30:31], v[42:43], v[40:41]
	v_mul_u64_e32 v[34:35], s[62:63], v[30:31]
	s_delay_alu instid0(VALU_DEP_1) | instskip(NEXT) | instid1(VALU_DEP_2)
	v_sub_nc_u32_e32 v3, v38, v35
	v_sub_co_u32 v27, vcc_lo, v32, v34
	s_delay_alu instid0(VALU_DEP_1) | instskip(NEXT) | instid1(VALU_DEP_3)
	v_sub_co_ci_u32_e64 v37, null, v38, v35, vcc_lo
	v_subrev_co_ci_u32_e64 v3, null, s63, v3, vcc_lo
	s_delay_alu instid0(VALU_DEP_3) | instskip(SKIP_1) | instid1(VALU_DEP_3)
	v_sub_co_u32 v32, s1, v27, s62
	v_add_nc_u64_e32 v[34:35], 1, v[30:31]
	v_subrev_co_ci_u32_e64 v3, null, 0, v3, s1
	s_delay_alu instid0(VALU_DEP_3) | instskip(SKIP_1) | instid1(VALU_DEP_3)
	v_cmp_le_u32_e32 vcc_lo, s62, v32
	v_cndmask_b32_e64 v32, 0, -1, vcc_lo
	v_cmp_le_u32_e32 vcc_lo, s63, v3
	v_cndmask_b32_e64 v33, 0, -1, vcc_lo
	;; [unrolled: 2-line block ×4, first 2 shown]
	v_cmp_eq_u32_e32 vcc_lo, s63, v3
	v_cndmask_b32_e32 v3, v33, v32, vcc_lo
	v_cmp_eq_u32_e32 vcc_lo, s63, v37
	v_add_nc_u64_e32 v[32:33], 2, v[30:31]
	v_cndmask_b32_e32 v27, v38, v27, vcc_lo
	s_delay_alu instid0(VALU_DEP_4) | instskip(NEXT) | instid1(VALU_DEP_2)
	v_cmp_ne_u32_e32 vcc_lo, 0, v3
	v_cmp_ne_u32_e64 s1, 0, v27
	s_delay_alu instid0(VALU_DEP_4) | instskip(NEXT) | instid1(VALU_DEP_1)
	v_dual_cndmask_b32 v3, v35, v33, vcc_lo :: v_dual_cndmask_b32 v27, v34, v32, vcc_lo
	v_cndmask_b32_e64 v3, v31, v3, s1
	s_delay_alu instid0(VALU_DEP_2) | instskip(NEXT) | instid1(VALU_DEP_2)
	v_cndmask_b32_e64 v30, v30, v27, s1
	v_dual_mov_b32 v27, v26 :: v_dual_bitop2_b32 v31, v3, v26 bitop3:0x14
	s_delay_alu instid0(VALU_DEP_2) | instskip(NEXT) | instid1(VALU_DEP_1)
	v_xor_b32_e32 v30, v30, v26
	v_sub_nc_u64_e32 v[26:27], v[30:31], v[26:27]
.LBB3_47:                               ;   in Loop: Header=BB3_44 Depth=2
	s_and_not1_saveexec_b32 s1, s66
	s_cbranch_execz .LBB3_49
; %bb.48:                               ;   in Loop: Header=BB3_44 Depth=2
	v_cvt_f32_u32_e32 v3, s44
	s_sub_co_i32 s2, 0, s44
	s_delay_alu instid0(VALU_DEP_1) | instskip(SKIP_1) | instid1(TRANS32_DEP_1)
	v_rcp_iflag_f32_e32 v3, v3
	v_nop
	v_mul_f32_e32 v3, 0x4f7ffffe, v3
	s_delay_alu instid0(VALU_DEP_1) | instskip(NEXT) | instid1(VALU_DEP_1)
	v_cvt_u32_f32_e32 v3, v3
	v_mul_lo_u32 v26, s2, v3
	s_delay_alu instid0(VALU_DEP_1) | instskip(NEXT) | instid1(VALU_DEP_1)
	v_mul_hi_u32 v26, v3, v26
	v_add_nc_u32_e32 v3, v3, v26
	s_delay_alu instid0(VALU_DEP_1) | instskip(NEXT) | instid1(VALU_DEP_1)
	v_mul_hi_u32 v3, v28, v3
	v_mul_lo_u32 v26, v3, s44
	s_delay_alu instid0(VALU_DEP_1) | instskip(NEXT) | instid1(VALU_DEP_1)
	v_sub_nc_u32_e32 v26, v28, v26
	v_subrev_nc_u32_e32 v30, s44, v26
	v_cmp_le_u32_e32 vcc_lo, s44, v26
	s_delay_alu instid0(VALU_DEP_2) | instskip(NEXT) | instid1(VALU_DEP_1)
	v_dual_cndmask_b32 v26, v26, v30 :: v_dual_add_nc_u32 v27, 1, v3
	v_cndmask_b32_e32 v3, v3, v27, vcc_lo
	s_delay_alu instid0(VALU_DEP_2) | instskip(NEXT) | instid1(VALU_DEP_2)
	v_cmp_le_u32_e32 vcc_lo, s44, v26
	v_add_nc_u32_e32 v27, 1, v3
	s_delay_alu instid0(VALU_DEP_1)
	v_dual_cndmask_b32 v26, v3, v27 :: v_dual_mov_b32 v27, v2
.LBB3_49:                               ;   in Loop: Header=BB3_44 Depth=2
	s_or_b32 exec_lo, exec_lo, s1
	s_delay_alu instid0(VALU_DEP_1) | instskip(SKIP_3) | instid1(VALU_DEP_2)
	v_mul_u64_e32 v[30:31], s[44:45], v[26:27]
	v_add_nc_u64_e32 v[26:27], v[26:27], v[14:15]
	v_mov_b64_e32 v[32:33], v[10:11]
	s_mov_b32 s66, 0
	v_mul_u64_e32 v[26:27], s[18:19], v[26:27]
	s_delay_alu instid0(VALU_DEP_4) | instskip(SKIP_1) | instid1(VALU_DEP_2)
	v_sub_nc_u64_e32 v[28:29], v[28:29], v[30:31]
	v_mov_b64_e32 v[30:31], v[16:17]
	v_cmp_eq_u64_e64 s1, 0, v[28:29]
	v_mov_b64_e32 v[28:29], v[8:9]
	s_branch .LBB3_52
.LBB3_50:                               ;   in Loop: Header=BB3_52 Depth=3
	s_wait_xcnt 0x0
	s_or_b32 exec_lo, exec_lo, s2
.LBB3_51:                               ;   in Loop: Header=BB3_52 Depth=3
	s_delay_alu instid0(SALU_CYCLE_1) | instskip(SKIP_3) | instid1(VALU_DEP_3)
	s_or_b32 exec_lo, exec_lo, s67
	v_add_nc_u64_e32 v[32:33], 1, v[32:33]
	v_add_nc_u64_e32 v[30:31], 8, v[30:31]
	v_sub_nc_u64_e64 v[28:29], v[28:29], s[42:43]
	v_cmp_ge_i64_e32 vcc_lo, v[32:33], v[24:25]
	s_or_b32 s66, vcc_lo, s66
	s_delay_alu instid0(SALU_CYCLE_1)
	s_and_not1_b32 exec_lo, exec_lo, s66
	s_cbranch_execz .LBB3_42
.LBB3_52:                               ;   Parent Loop BB3_4 Depth=1
                                        ;     Parent Loop BB3_44 Depth=2
                                        ; =>    This Inner Loop Header: Depth=3
	s_delay_alu instid0(VALU_DEP_2)
	s_and_saveexec_b32 s67, s1
	s_cbranch_execz .LBB3_51
; %bb.53:                               ;   in Loop: Header=BB3_52 Depth=3
	s_delay_alu instid0(VALU_DEP_1) | instskip(SKIP_1) | instid1(VALU_DEP_1)
	v_or_b32_e32 v3, s47, v29
                                        ; implicit-def: $vgpr34_vgpr35
	s_mov_b32 s2, exec_lo
	v_cmpx_ne_u64_e32 0, v[2:3]
	s_xor_b32 s68, exec_lo, s2
	s_cbranch_execz .LBB3_55
; %bb.54:                               ;   in Loop: Header=BB3_52 Depth=3
	s_ashr_i32 s60, s47, 31
	v_dual_mov_b32 v41, v2 :: v_dual_ashrrev_i32 v34, 31, v29
	s_mov_b32 s61, s60
	v_mov_b32_e32 v45, v2
	s_add_nc_u64 s[62:63], s[46:47], s[60:61]
	s_delay_alu instid0(VALU_DEP_2)
	v_mov_b32_e32 v35, v34
	s_xor_b64 s[62:63], s[62:63], s[60:61]
	v_mov_b32_e32 v49, v2
	s_cvt_f32_u32 s2, s62
	s_cvt_f32_u32 s61, s63
	s_sub_nc_u64 s[72:73], 0, s[62:63]
	v_add_nc_u64_e32 v[38:39], v[28:29], v[34:35]
	s_delay_alu instid0(SALU_CYCLE_1) | instskip(NEXT) | instid1(SALU_CYCLE_3)
	s_fmamk_f32 s2, s61, 0x4f800000, s2
	v_s_rcp_f32 s2, s2
	s_delay_alu instid0(VALU_DEP_1) | instskip(NEXT) | instid1(VALU_DEP_2)
	v_xor_b32_e32 v44, v39, v34
	v_xor_b32_e32 v40, v38, v34
	s_delay_alu instid0(TRANS32_DEP_1) | instskip(NEXT) | instid1(SALU_CYCLE_3)
	s_mul_f32 s2, s2, 0x5f7ffffc
	s_mul_f32 s61, s2, 0x2f800000
	s_delay_alu instid0(SALU_CYCLE_3) | instskip(NEXT) | instid1(SALU_CYCLE_3)
	s_trunc_f32 s61, s61
	s_fmamk_f32 s2, s61, 0xcf800000, s2
	s_cvt_u32_f32 s71, s61
	s_delay_alu instid0(SALU_CYCLE_2) | instskip(NEXT) | instid1(SALU_CYCLE_3)
	s_cvt_u32_f32 s70, s2
	s_mul_u64 s[74:75], s[72:73], s[70:71]
	s_delay_alu instid0(SALU_CYCLE_1)
	s_mul_hi_u32 s77, s70, s75
	s_mul_i32 s76, s70, s75
	s_mul_hi_u32 s2, s70, s74
	s_mul_i32 s69, s71, s74
	s_add_nc_u64 s[76:77], s[2:3], s[76:77]
	s_mul_hi_u32 s61, s71, s74
	s_mul_hi_u32 s78, s71, s75
	s_add_co_u32 s2, s76, s69
	s_add_co_ci_u32 s2, s77, s61
	s_mul_i32 s74, s71, s75
	s_add_co_ci_u32 s75, s78, 0
	s_delay_alu instid0(SALU_CYCLE_1) | instskip(NEXT) | instid1(SALU_CYCLE_1)
	s_add_nc_u64 s[74:75], s[2:3], s[74:75]
	s_add_co_u32 s70, s70, s74
	s_cselect_b32 s2, -1, 0
	s_delay_alu instid0(SALU_CYCLE_1) | instskip(SKIP_1) | instid1(SALU_CYCLE_1)
	s_cmp_lg_u32 s2, 0
	s_add_co_ci_u32 s71, s71, s75
	s_mul_u64 s[72:73], s[72:73], s[70:71]
	s_delay_alu instid0(SALU_CYCLE_1)
	s_mul_hi_u32 s75, s70, s73
	s_mul_i32 s74, s70, s73
	s_mul_hi_u32 s2, s70, s72
	s_mul_i32 s69, s71, s72
	s_add_nc_u64 s[74:75], s[2:3], s[74:75]
	s_mul_hi_u32 s61, s71, s72
	s_mul_hi_u32 s76, s71, s73
	s_add_co_u32 s2, s74, s69
	s_add_co_ci_u32 s2, s75, s61
	s_mul_i32 s72, s71, s73
	s_add_co_ci_u32 s73, s76, 0
	s_delay_alu instid0(SALU_CYCLE_1) | instskip(NEXT) | instid1(SALU_CYCLE_1)
	s_add_nc_u64 s[72:73], s[2:3], s[72:73]
	s_add_co_u32 s70, s70, s72
	s_cselect_b32 s2, -1, 0
	v_mul_hi_u32 v48, v40, s70
	s_cmp_lg_u32 s2, 0
	s_add_co_ci_u32 s2, s71, s73
	s_and_b64 s[72:73], s[70:71], s[28:29]
	v_mul_u64_e32 v[42:43], s[2:3], v[40:41]
	v_mul_u64_e32 v[38:39], s[72:73], v[44:45]
	;; [unrolled: 1-line block ×3, first 2 shown]
	s_delay_alu instid0(VALU_DEP_3) | instskip(NEXT) | instid1(VALU_DEP_1)
	v_add_nc_u64_e32 v[42:43], v[48:49], v[42:43]
	v_add_co_u32 v3, vcc_lo, v42, v38
	s_delay_alu instid0(VALU_DEP_2) | instskip(NEXT) | instid1(VALU_DEP_4)
	v_add_co_ci_u32_e32 v48, vcc_lo, v43, v39, vcc_lo
	v_add_co_ci_u32_e32 v47, vcc_lo, 0, v47, vcc_lo
	s_delay_alu instid0(VALU_DEP_1) | instskip(NEXT) | instid1(VALU_DEP_1)
	v_add_nc_u64_e32 v[38:39], v[48:49], v[46:47]
	v_mul_u64_e32 v[42:43], s[62:63], v[38:39]
	s_delay_alu instid0(VALU_DEP_1) | instskip(NEXT) | instid1(VALU_DEP_2)
	v_sub_nc_u32_e32 v3, v44, v43
	v_sub_co_u32 v35, vcc_lo, v40, v42
	s_delay_alu instid0(VALU_DEP_1) | instskip(NEXT) | instid1(VALU_DEP_3)
	v_sub_co_ci_u32_e64 v44, null, v44, v43, vcc_lo
	v_subrev_co_ci_u32_e64 v3, null, s63, v3, vcc_lo
	s_delay_alu instid0(VALU_DEP_3) | instskip(SKIP_1) | instid1(VALU_DEP_3)
	v_sub_co_u32 v37, s2, v35, s62
	v_add_nc_u64_e32 v[42:43], 1, v[38:39]
	v_subrev_co_ci_u32_e64 v3, null, 0, v3, s2
	s_delay_alu instid0(VALU_DEP_3) | instskip(SKIP_1) | instid1(VALU_DEP_3)
	v_cmp_le_u32_e32 vcc_lo, s62, v37
	v_cndmask_b32_e64 v37, 0, -1, vcc_lo
	v_cmp_le_u32_e32 vcc_lo, s63, v3
	v_cndmask_b32_e64 v40, 0, -1, vcc_lo
	;; [unrolled: 2-line block ×4, first 2 shown]
	v_cmp_eq_u32_e32 vcc_lo, s63, v3
	v_cndmask_b32_e32 v3, v40, v37, vcc_lo
	v_cmp_eq_u32_e32 vcc_lo, s63, v44
	v_add_nc_u64_e32 v[40:41], 2, v[38:39]
	v_cndmask_b32_e32 v35, v45, v35, vcc_lo
	s_delay_alu instid0(VALU_DEP_4) | instskip(NEXT) | instid1(VALU_DEP_2)
	v_cmp_ne_u32_e32 vcc_lo, 0, v3
	v_cmp_ne_u32_e64 s2, 0, v35
	s_delay_alu instid0(VALU_DEP_4) | instskip(NEXT) | instid1(VALU_DEP_1)
	v_dual_cndmask_b32 v3, v43, v41, vcc_lo :: v_dual_cndmask_b32 v35, v42, v40, vcc_lo
	v_dual_cndmask_b32 v3, v39, v3, s2 :: v_dual_bitop2_b32 v34, s60, v34 bitop3:0x14
	s_delay_alu instid0(VALU_DEP_1) | instskip(NEXT) | instid1(VALU_DEP_1)
	v_dual_cndmask_b32 v37, v38, v35, s2 :: v_dual_bitop2_b32 v39, v3, v34 bitop3:0x14
	v_dual_mov_b32 v35, v34 :: v_dual_bitop2_b32 v38, v37, v34 bitop3:0x14
	s_delay_alu instid0(VALU_DEP_1)
	v_sub_nc_u64_e32 v[34:35], v[38:39], v[34:35]
.LBB3_55:                               ;   in Loop: Header=BB3_52 Depth=3
	s_and_not1_saveexec_b32 s2, s68
	s_cbranch_execz .LBB3_57
; %bb.56:                               ;   in Loop: Header=BB3_52 Depth=3
	v_cvt_f32_u32_e32 v3, s46
	s_sub_co_i32 s60, 0, s46
	s_delay_alu instid0(VALU_DEP_1) | instskip(SKIP_1) | instid1(TRANS32_DEP_1)
	v_rcp_iflag_f32_e32 v3, v3
	v_nop
	v_mul_f32_e32 v3, 0x4f7ffffe, v3
	s_delay_alu instid0(VALU_DEP_1) | instskip(NEXT) | instid1(VALU_DEP_1)
	v_cvt_u32_f32_e32 v3, v3
	v_mul_lo_u32 v34, s60, v3
	s_delay_alu instid0(VALU_DEP_1) | instskip(NEXT) | instid1(VALU_DEP_1)
	v_mul_hi_u32 v34, v3, v34
	v_add_nc_u32_e32 v3, v3, v34
	s_delay_alu instid0(VALU_DEP_1) | instskip(NEXT) | instid1(VALU_DEP_1)
	v_mul_hi_u32 v3, v28, v3
	v_mul_lo_u32 v34, v3, s46
	s_delay_alu instid0(VALU_DEP_1) | instskip(NEXT) | instid1(VALU_DEP_1)
	v_dual_add_nc_u32 v35, 1, v3 :: v_dual_sub_nc_u32 v34, v28, v34
	v_subrev_nc_u32_e32 v37, s46, v34
	v_cmp_le_u32_e32 vcc_lo, s46, v34
	s_delay_alu instid0(VALU_DEP_2) | instskip(NEXT) | instid1(VALU_DEP_1)
	v_dual_cndmask_b32 v34, v34, v37 :: v_dual_cndmask_b32 v3, v3, v35
	v_cmp_le_u32_e32 vcc_lo, s46, v34
	s_delay_alu instid0(VALU_DEP_2) | instskip(NEXT) | instid1(VALU_DEP_1)
	v_add_nc_u32_e32 v35, 1, v3
	v_dual_cndmask_b32 v34, v3, v35 :: v_dual_mov_b32 v35, v2
.LBB3_57:                               ;   in Loop: Header=BB3_52 Depth=3
	s_or_b32 exec_lo, exec_lo, s2
	s_delay_alu instid0(VALU_DEP_1) | instskip(SKIP_1) | instid1(VALU_DEP_1)
	v_mul_u64_e32 v[38:39], s[46:47], v[34:35]
	s_mov_b32 s2, exec_lo
	v_sub_nc_u64_e32 v[38:39], v[28:29], v[38:39]
	s_delay_alu instid0(VALU_DEP_1)
	v_cmpx_eq_u64_e32 0, v[38:39]
	s_cbranch_execz .LBB3_50
; %bb.58:                               ;   in Loop: Header=BB3_52 Depth=3
	v_add_nc_u64_e32 v[34:35], v[26:27], v[34:35]
	s_delay_alu instid0(VALU_DEP_1) | instskip(NEXT) | instid1(VALU_DEP_1)
	v_mad_nc_u64_u32 v[38:39], v34, s48, v[18:19]
	v_mad_u32 v3, v35, s48, v39
	s_delay_alu instid0(VALU_DEP_2) | instskip(NEXT) | instid1(VALU_DEP_2)
	v_mad_nc_u64_u32 v[40:41], s54, v38, v[30:31]
	v_mad_u32 v3, v34, s49, v3
	s_delay_alu instid0(VALU_DEP_2) | instskip(NEXT) | instid1(VALU_DEP_1)
	v_mad_u32 v34, s55, v38, v41
	v_mad_u32 v41, s54, v3, v34
	global_load_b64 v[34:35], v[40:41], off
	s_wait_loadcnt 0x0
	v_pk_add_f32 v[22:23], v[22:23], v[34:35]
	s_branch .LBB3_50
.LBB3_59:
	s_endpgm
	.section	.rodata,"a",@progbits
	.p2align	6, 0x0
	.amdhsa_kernel _ZN2at6native21col2im_batched_kernelIN3c107complexIfEEEEvlPKT_llllllllllllllPS5_l
		.amdhsa_group_segment_fixed_size 0
		.amdhsa_private_segment_fixed_size 0
		.amdhsa_kernarg_size 400
		.amdhsa_user_sgpr_count 2
		.amdhsa_user_sgpr_dispatch_ptr 0
		.amdhsa_user_sgpr_queue_ptr 0
		.amdhsa_user_sgpr_kernarg_segment_ptr 1
		.amdhsa_user_sgpr_dispatch_id 0
		.amdhsa_user_sgpr_kernarg_preload_length 0
		.amdhsa_user_sgpr_kernarg_preload_offset 0
		.amdhsa_user_sgpr_private_segment_size 0
		.amdhsa_wavefront_size32 1
		.amdhsa_uses_dynamic_stack 0
		.amdhsa_enable_private_segment 0
		.amdhsa_system_sgpr_workgroup_id_x 1
		.amdhsa_system_sgpr_workgroup_id_y 0
		.amdhsa_system_sgpr_workgroup_id_z 0
		.amdhsa_system_sgpr_workgroup_info 0
		.amdhsa_system_vgpr_workitem_id 0
		.amdhsa_next_free_vgpr 50
		.amdhsa_next_free_sgpr 79
		.amdhsa_named_barrier_count 0
		.amdhsa_reserve_vcc 1
		.amdhsa_float_round_mode_32 0
		.amdhsa_float_round_mode_16_64 0
		.amdhsa_float_denorm_mode_32 3
		.amdhsa_float_denorm_mode_16_64 3
		.amdhsa_fp16_overflow 0
		.amdhsa_memory_ordered 1
		.amdhsa_forward_progress 1
		.amdhsa_inst_pref_size 65
		.amdhsa_round_robin_scheduling 0
		.amdhsa_exception_fp_ieee_invalid_op 0
		.amdhsa_exception_fp_denorm_src 0
		.amdhsa_exception_fp_ieee_div_zero 0
		.amdhsa_exception_fp_ieee_overflow 0
		.amdhsa_exception_fp_ieee_underflow 0
		.amdhsa_exception_fp_ieee_inexact 0
		.amdhsa_exception_int_div_zero 0
	.end_amdhsa_kernel
	.section	.text._ZN2at6native21col2im_batched_kernelIN3c107complexIfEEEEvlPKT_llllllllllllllPS5_l,"axG",@progbits,_ZN2at6native21col2im_batched_kernelIN3c107complexIfEEEEvlPKT_llllllllllllllPS5_l,comdat
.Lfunc_end3:
	.size	_ZN2at6native21col2im_batched_kernelIN3c107complexIfEEEEvlPKT_llllllllllllllPS5_l, .Lfunc_end3-_ZN2at6native21col2im_batched_kernelIN3c107complexIfEEEEvlPKT_llllllllllllllPS5_l
                                        ; -- End function
	.set _ZN2at6native21col2im_batched_kernelIN3c107complexIfEEEEvlPKT_llllllllllllllPS5_l.num_vgpr, 50
	.set _ZN2at6native21col2im_batched_kernelIN3c107complexIfEEEEvlPKT_llllllllllllllPS5_l.num_agpr, 0
	.set _ZN2at6native21col2im_batched_kernelIN3c107complexIfEEEEvlPKT_llllllllllllllPS5_l.numbered_sgpr, 79
	.set _ZN2at6native21col2im_batched_kernelIN3c107complexIfEEEEvlPKT_llllllllllllllPS5_l.num_named_barrier, 0
	.set _ZN2at6native21col2im_batched_kernelIN3c107complexIfEEEEvlPKT_llllllllllllllPS5_l.private_seg_size, 0
	.set _ZN2at6native21col2im_batched_kernelIN3c107complexIfEEEEvlPKT_llllllllllllllPS5_l.uses_vcc, 1
	.set _ZN2at6native21col2im_batched_kernelIN3c107complexIfEEEEvlPKT_llllllllllllllPS5_l.uses_flat_scratch, 0
	.set _ZN2at6native21col2im_batched_kernelIN3c107complexIfEEEEvlPKT_llllllllllllllPS5_l.has_dyn_sized_stack, 0
	.set _ZN2at6native21col2im_batched_kernelIN3c107complexIfEEEEvlPKT_llllllllllllllPS5_l.has_recursion, 0
	.set _ZN2at6native21col2im_batched_kernelIN3c107complexIfEEEEvlPKT_llllllllllllllPS5_l.has_indirect_call, 0
	.section	.AMDGPU.csdata,"",@progbits
; Kernel info:
; codeLenInByte = 8212
; TotalNumSgprs: 81
; NumVgprs: 50
; ScratchSize: 0
; MemoryBound: 0
; FloatMode: 240
; IeeeMode: 1
; LDSByteSize: 0 bytes/workgroup (compile time only)
; SGPRBlocks: 0
; VGPRBlocks: 3
; NumSGPRsForWavesPerEU: 81
; NumVGPRsForWavesPerEU: 50
; NamedBarCnt: 0
; Occupancy: 16
; WaveLimiterHint : 0
; COMPUTE_PGM_RSRC2:SCRATCH_EN: 0
; COMPUTE_PGM_RSRC2:USER_SGPR: 2
; COMPUTE_PGM_RSRC2:TRAP_HANDLER: 0
; COMPUTE_PGM_RSRC2:TGID_X_EN: 1
; COMPUTE_PGM_RSRC2:TGID_Y_EN: 0
; COMPUTE_PGM_RSRC2:TGID_Z_EN: 0
; COMPUTE_PGM_RSRC2:TIDIG_COMP_CNT: 0
	.section	.text._ZN2at6native21col2im_batched_kernelIN3c104HalfEEEvlPKT_llllllllllllllPS4_l,"axG",@progbits,_ZN2at6native21col2im_batched_kernelIN3c104HalfEEEvlPKT_llllllllllllllPS4_l,comdat
	.protected	_ZN2at6native21col2im_batched_kernelIN3c104HalfEEEvlPKT_llllllllllllllPS4_l ; -- Begin function _ZN2at6native21col2im_batched_kernelIN3c104HalfEEEvlPKT_llllllllllllllPS4_l
	.globl	_ZN2at6native21col2im_batched_kernelIN3c104HalfEEEvlPKT_llllllllllllllPS4_l
	.p2align	8
	.type	_ZN2at6native21col2im_batched_kernelIN3c104HalfEEEvlPKT_llllllllllllllPS4_l,@function
_ZN2at6native21col2im_batched_kernelIN3c104HalfEEEvlPKT_llllllllllllllPS4_l: ; @_ZN2at6native21col2im_batched_kernelIN3c104HalfEEEvlPKT_llllllllllllllPS4_l
; %bb.0:
	s_load_b32 s2, s[0:1], 0x9c
	s_bfe_u32 s20, ttmp6, 0x4000c
	s_load_b512 s[4:19], s[0:1], 0x0
	v_mov_b32_e32 v2, 0
	s_add_co_i32 s20, s20, 1
	s_and_b32 s3, ttmp6, 15
	s_mul_i32 s20, ttmp9, s20
	s_getreg_b32 s21, hwreg(HW_REG_IB_STS2, 6, 4)
	v_mov_b32_e32 v1, v2
	s_add_co_i32 s3, s3, s20
	s_mov_b32 s20, exec_lo
	s_wait_kmcnt 0x0
	s_and_b32 s2, s2, 0xffff
	s_cmp_eq_u32 s21, 0
	s_mul_u64 s[10:11], s[10:11], s[4:5]
	s_cselect_b32 s3, ttmp9, s3
	s_delay_alu instid0(SALU_CYCLE_1) | instskip(SKIP_1) | instid1(VALU_DEP_1)
	v_mad_nc_u64_u32 v[0:1], s2, s3, v[0:1]
	s_mov_b32 s3, 0
	v_cmpx_gt_i64_e64 s[10:11], v[0:1]
	s_cbranch_execz .LBB4_59
; %bb.1:
	s_load_b512 s[36:51], s[0:1], 0x40
	s_add_nc_u64 s[20:21], s[0:1], 0x90
	v_cvt_f32_u32_e32 v3, s4
	s_load_b32 s26, s[20:21], 0x0
	s_add_nc_u64 s[52:53], s[16:17], -1
	s_wait_xcnt 0x0
	s_load_b128 s[20:23], s[0:1], 0x80
	s_wait_xcnt 0x0
	s_add_nc_u64 s[0:1], s[18:19], -1
	v_rcp_iflag_f32_e32 v3, v3
	s_mul_u64 s[24:25], s[14:15], s[12:13]
	s_mov_b32 s27, s3
	s_lshl_b64 s[8:9], s[8:9], 1
	s_mov_b64 s[28:29], 0xffffffff
	s_ashr_i32 s30, s5, 31
	s_mov_b32 s33, 0
	v_nop
	v_mul_f32_e32 v3, 0x4f7ffffe, v3
	s_delay_alu instid0(VALU_DEP_1)
	v_cvt_u32_f32_e32 v34, v3
	s_wait_kmcnt 0x0
	s_mul_u64 s[34:35], s[46:47], s[0:1]
	s_mul_u64 s[52:53], s[44:45], s[52:53]
	s_lshl_b64 s[54:55], s[50:51], 1
	s_not_b64 s[56:57], s[52:53]
	s_not_b64 s[58:59], s[34:35]
	s_mul_i32 s26, s26, s2
	s_branch .LBB4_4
.LBB4_2:                                ;   in Loop: Header=BB4_4 Depth=1
	s_or_b32 exec_lo, exec_lo, s64
	v_cvt_f16_f32_e32 v3, v35
.LBB4_3:                                ;   in Loop: Header=BB4_4 Depth=1
	s_or_b32 exec_lo, exec_lo, s31
	v_mul_u64_e32 v[4:5], s[22:23], v[4:5]
	v_add_nc_u64_e32 v[0:1], s[26:27], v[0:1]
	s_delay_alu instid0(VALU_DEP_1) | instskip(SKIP_1) | instid1(VALU_DEP_3)
	v_cmp_le_i64_e32 vcc_lo, s[10:11], v[0:1]
	s_or_b32 s33, vcc_lo, s33
	v_lshl_add_u64 v[4:5], v[4:5], 1, s[20:21]
	s_delay_alu instid0(VALU_DEP_1)
	v_lshl_add_u64 v[4:5], v[6:7], 1, v[4:5]
	global_store_b16 v[4:5], v3, off
	s_wait_xcnt 0x0
	s_and_not1_b32 exec_lo, exec_lo, s33
	s_cbranch_execz .LBB4_59
.LBB4_4:                                ; =>This Loop Header: Depth=1
                                        ;     Child Loop BB4_44 Depth 2
                                        ;       Child Loop BB4_52 Depth 3
	v_or_b32_e32 v3, s5, v1
                                        ; implicit-def: $vgpr4_vgpr5
	s_mov_b32 s0, exec_lo
	s_delay_alu instid0(VALU_DEP_1)
	v_cmpx_ne_u64_e32 0, v[2:3]
	s_xor_b32 s1, exec_lo, s0
	s_cbranch_execz .LBB4_6
; %bb.5:                                ;   in Loop: Header=BB4_4 Depth=1
	s_mov_b32 s31, s30
	v_dual_mov_b32 v9, v2 :: v_dual_ashrrev_i32 v4, 31, v1
	s_add_nc_u64 s[60:61], s[4:5], s[30:31]
	s_delay_alu instid0(SALU_CYCLE_1) | instskip(NEXT) | instid1(VALU_DEP_1)
	s_xor_b64 s[60:61], s[60:61], s[30:31]
	v_mov_b32_e32 v5, v4
	s_cvt_f32_u32 s0, s60
	s_cvt_f32_u32 s2, s61
	s_sub_nc_u64 s[64:65], 0, s[60:61]
	s_delay_alu instid0(VALU_DEP_1) | instskip(NEXT) | instid1(SALU_CYCLE_1)
	v_add_nc_u64_e32 v[6:7], v[0:1], v[4:5]
	s_fmamk_f32 s0, s2, 0x4f800000, s0
	v_mov_b32_e32 v13, v2
	s_delay_alu instid0(SALU_CYCLE_2) | instskip(NEXT) | instid1(VALU_DEP_2)
	v_s_rcp_f32 s0, s0
	v_xor_b32_e32 v8, v6, v4
	s_delay_alu instid0(VALU_DEP_3) | instskip(SKIP_1) | instid1(TRANS32_DEP_1)
	v_dual_mov_b32 v17, v2 :: v_dual_bitop2_b32 v12, v7, v4 bitop3:0x14
	v_xor_b32_e32 v4, s30, v4
	s_mul_f32 s0, s0, 0x5f7ffffc
	s_delay_alu instid0(SALU_CYCLE_3) | instskip(NEXT) | instid1(SALU_CYCLE_3)
	s_mul_f32 s2, s0, 0x2f800000
	s_trunc_f32 s2, s2
	s_delay_alu instid0(SALU_CYCLE_3) | instskip(SKIP_1) | instid1(SALU_CYCLE_2)
	s_fmamk_f32 s0, s2, 0xcf800000, s0
	s_cvt_u32_f32 s63, s2
	s_cvt_u32_f32 s62, s0
	s_delay_alu instid0(SALU_CYCLE_3) | instskip(NEXT) | instid1(SALU_CYCLE_1)
	s_mul_u64 s[66:67], s[64:65], s[62:63]
	s_mul_hi_u32 s69, s62, s67
	s_mul_i32 s68, s62, s67
	s_mul_hi_u32 s2, s62, s66
	s_mul_i32 s31, s63, s66
	s_add_nc_u64 s[68:69], s[2:3], s[68:69]
	s_mul_hi_u32 s0, s63, s66
	s_mul_hi_u32 s70, s63, s67
	s_add_co_u32 s2, s68, s31
	s_add_co_ci_u32 s2, s69, s0
	s_mul_i32 s66, s63, s67
	s_add_co_ci_u32 s67, s70, 0
	s_delay_alu instid0(SALU_CYCLE_1) | instskip(NEXT) | instid1(SALU_CYCLE_1)
	s_add_nc_u64 s[66:67], s[2:3], s[66:67]
	s_add_co_u32 s62, s62, s66
	s_cselect_b32 s0, -1, 0
	s_delay_alu instid0(SALU_CYCLE_1) | instskip(SKIP_1) | instid1(SALU_CYCLE_1)
	s_cmp_lg_u32 s0, 0
	s_add_co_ci_u32 s63, s63, s67
	s_mul_u64 s[64:65], s[64:65], s[62:63]
	s_delay_alu instid0(SALU_CYCLE_1)
	s_mul_hi_u32 s67, s62, s65
	s_mul_i32 s66, s62, s65
	s_mul_hi_u32 s2, s62, s64
	s_mul_i32 s31, s63, s64
	s_add_nc_u64 s[66:67], s[2:3], s[66:67]
	s_mul_hi_u32 s0, s63, s64
	s_mul_hi_u32 s68, s63, s65
	s_add_co_u32 s2, s66, s31
	s_add_co_ci_u32 s2, s67, s0
	s_mul_i32 s64, s63, s65
	s_add_co_ci_u32 s65, s68, 0
	s_delay_alu instid0(SALU_CYCLE_1) | instskip(NEXT) | instid1(SALU_CYCLE_1)
	s_add_nc_u64 s[64:65], s[2:3], s[64:65]
	s_add_co_u32 s0, s62, s64
	s_cselect_b32 s2, -1, 0
	v_mul_hi_u32 v16, v8, s0
	s_cmp_lg_u32 s2, 0
	s_add_co_ci_u32 s2, s63, s65
	s_and_b64 s[62:63], s[0:1], s[28:29]
	v_mul_u64_e32 v[10:11], s[2:3], v[8:9]
	v_mul_u64_e32 v[6:7], s[62:63], v[12:13]
	;; [unrolled: 1-line block ×3, first 2 shown]
	s_delay_alu instid0(VALU_DEP_3) | instskip(NEXT) | instid1(VALU_DEP_1)
	v_add_nc_u64_e32 v[10:11], v[16:17], v[10:11]
	v_add_co_u32 v3, vcc_lo, v10, v6
	s_delay_alu instid0(VALU_DEP_2) | instskip(NEXT) | instid1(VALU_DEP_4)
	v_add_co_ci_u32_e32 v16, vcc_lo, v11, v7, vcc_lo
	v_add_co_ci_u32_e32 v15, vcc_lo, 0, v15, vcc_lo
	s_delay_alu instid0(VALU_DEP_1) | instskip(NEXT) | instid1(VALU_DEP_1)
	v_add_nc_u64_e32 v[6:7], v[16:17], v[14:15]
	v_mul_u64_e32 v[10:11], s[60:61], v[6:7]
	s_delay_alu instid0(VALU_DEP_1) | instskip(NEXT) | instid1(VALU_DEP_2)
	v_sub_nc_u32_e32 v3, v12, v11
	v_sub_co_u32 v5, vcc_lo, v8, v10
	s_delay_alu instid0(VALU_DEP_1) | instskip(NEXT) | instid1(VALU_DEP_3)
	v_sub_co_ci_u32_e64 v12, null, v12, v11, vcc_lo
	v_subrev_co_ci_u32_e64 v3, null, s61, v3, vcc_lo
	s_delay_alu instid0(VALU_DEP_3) | instskip(SKIP_1) | instid1(VALU_DEP_3)
	v_sub_co_u32 v8, s0, v5, s60
	v_add_nc_u64_e32 v[10:11], 1, v[6:7]
	v_subrev_co_ci_u32_e64 v3, null, 0, v3, s0
	s_delay_alu instid0(VALU_DEP_3) | instskip(SKIP_1) | instid1(VALU_DEP_3)
	v_cmp_le_u32_e32 vcc_lo, s60, v8
	v_cndmask_b32_e64 v8, 0, -1, vcc_lo
	v_cmp_le_u32_e32 vcc_lo, s61, v3
	v_cndmask_b32_e64 v9, 0, -1, vcc_lo
	;; [unrolled: 2-line block ×4, first 2 shown]
	v_cmp_eq_u32_e32 vcc_lo, s61, v3
	v_cndmask_b32_e32 v3, v9, v8, vcc_lo
	v_cmp_eq_u32_e32 vcc_lo, s61, v12
	v_add_nc_u64_e32 v[8:9], 2, v[6:7]
	v_cndmask_b32_e32 v5, v13, v5, vcc_lo
	s_delay_alu instid0(VALU_DEP_4) | instskip(NEXT) | instid1(VALU_DEP_2)
	v_cmp_ne_u32_e32 vcc_lo, 0, v3
	v_cmp_ne_u32_e64 s0, 0, v5
	s_delay_alu instid0(VALU_DEP_4) | instskip(NEXT) | instid1(VALU_DEP_1)
	v_dual_cndmask_b32 v3, v11, v9, vcc_lo :: v_dual_cndmask_b32 v5, v10, v8, vcc_lo
	v_dual_cndmask_b32 v6, v6, v5, s0 :: v_dual_mov_b32 v5, v4
	s_delay_alu instid0(VALU_DEP_1) | instskip(NEXT) | instid1(VALU_DEP_1)
	v_dual_cndmask_b32 v3, v7, v3, s0 :: v_dual_bitop2_b32 v6, v6, v4 bitop3:0x14
	v_xor_b32_e32 v7, v3, v4
	s_delay_alu instid0(VALU_DEP_1)
	v_sub_nc_u64_e32 v[4:5], v[6:7], v[4:5]
.LBB4_6:                                ;   in Loop: Header=BB4_4 Depth=1
	s_and_not1_saveexec_b32 s0, s1
	s_cbranch_execz .LBB4_8
; %bb.7:                                ;   in Loop: Header=BB4_4 Depth=1
	s_sub_co_i32 s1, 0, s4
	s_delay_alu instid0(SALU_CYCLE_1) | instskip(NEXT) | instid1(VALU_DEP_1)
	v_mul_lo_u32 v3, s1, v34
	v_mul_hi_u32 v3, v34, v3
	s_delay_alu instid0(VALU_DEP_1) | instskip(NEXT) | instid1(VALU_DEP_1)
	v_add_nc_u32_e32 v3, v34, v3
	v_mul_hi_u32 v3, v0, v3
	s_delay_alu instid0(VALU_DEP_1) | instskip(NEXT) | instid1(VALU_DEP_1)
	v_mul_lo_u32 v4, v3, s4
	v_sub_nc_u32_e32 v4, v0, v4
	s_delay_alu instid0(VALU_DEP_1) | instskip(SKIP_1) | instid1(VALU_DEP_2)
	v_subrev_nc_u32_e32 v6, s4, v4
	v_cmp_le_u32_e32 vcc_lo, s4, v4
	v_dual_cndmask_b32 v4, v4, v6 :: v_dual_add_nc_u32 v5, 1, v3
	s_delay_alu instid0(VALU_DEP_1) | instskip(NEXT) | instid1(VALU_DEP_2)
	v_cndmask_b32_e32 v3, v3, v5, vcc_lo
	v_cmp_le_u32_e32 vcc_lo, s4, v4
	s_delay_alu instid0(VALU_DEP_2) | instskip(NEXT) | instid1(VALU_DEP_1)
	v_add_nc_u32_e32 v5, 1, v3
	v_dual_cndmask_b32 v4, v3, v5 :: v_dual_mov_b32 v5, v2
.LBB4_8:                                ;   in Loop: Header=BB4_4 Depth=1
	s_or_b32 exec_lo, exec_lo, s0
	s_delay_alu instid0(VALU_DEP_1) | instskip(SKIP_1) | instid1(VALU_DEP_1)
	v_mul_u64_e32 v[8:9], s[4:5], v[4:5]
                                        ; implicit-def: $vgpr16_vgpr17
	s_mov_b32 s0, exec_lo
	v_sub_nc_u64_e32 v[6:7], v[0:1], v[8:9]
	s_delay_alu instid0(VALU_DEP_1) | instskip(NEXT) | instid1(VALU_DEP_1)
	v_dual_ashrrev_i32 v10, 31, v7 :: v_dual_bitop2_b32 v3, s15, v7 bitop3:0x54
	v_cmpx_ne_u64_e32 0, v[2:3]
	s_xor_b32 s1, exec_lo, s0
	s_cbranch_execz .LBB4_10
; %bb.9:                                ;   in Loop: Header=BB4_4 Depth=1
	s_ashr_i32 s60, s15, 31
	v_dual_mov_b32 v11, v10 :: v_dual_mov_b32 v15, v2
	s_mov_b32 s61, s60
	v_mov_b32_e32 v19, v2
	s_add_nc_u64 s[62:63], s[14:15], s[60:61]
	s_delay_alu instid0(VALU_DEP_2)
	v_add_nc_u64_e32 v[12:13], v[6:7], v[10:11]
	s_xor_b64 s[62:63], s[62:63], s[60:61]
	v_mov_b32_e32 v23, v2
	s_cvt_f32_u32 s0, s62
	s_cvt_f32_u32 s2, s63
	s_sub_nc_u64 s[66:67], 0, s[62:63]
	s_delay_alu instid0(VALU_DEP_2) | instskip(NEXT) | instid1(SALU_CYCLE_1)
	v_xor_b32_e32 v14, v12, v10
	s_fmamk_f32 s0, s2, 0x4f800000, s0
	v_xor_b32_e32 v18, v13, v10
	s_delay_alu instid0(SALU_CYCLE_2) | instskip(NEXT) | instid1(TRANS32_DEP_1)
	v_s_rcp_f32 s0, s0
	s_mul_f32 s0, s0, 0x5f7ffffc
	s_delay_alu instid0(SALU_CYCLE_3) | instskip(NEXT) | instid1(SALU_CYCLE_3)
	s_mul_f32 s2, s0, 0x2f800000
	s_trunc_f32 s2, s2
	s_delay_alu instid0(SALU_CYCLE_3) | instskip(SKIP_1) | instid1(SALU_CYCLE_2)
	s_fmamk_f32 s0, s2, 0xcf800000, s0
	s_cvt_u32_f32 s65, s2
	s_cvt_u32_f32 s64, s0
	s_delay_alu instid0(SALU_CYCLE_3) | instskip(NEXT) | instid1(SALU_CYCLE_1)
	s_mul_u64 s[68:69], s[66:67], s[64:65]
	s_mul_hi_u32 s71, s64, s69
	s_mul_i32 s70, s64, s69
	s_mul_hi_u32 s2, s64, s68
	s_mul_i32 s31, s65, s68
	s_add_nc_u64 s[70:71], s[2:3], s[70:71]
	s_mul_hi_u32 s0, s65, s68
	s_mul_hi_u32 s61, s65, s69
	s_add_co_u32 s2, s70, s31
	s_add_co_ci_u32 s2, s71, s0
	s_mul_i32 s68, s65, s69
	s_add_co_ci_u32 s69, s61, 0
	s_delay_alu instid0(SALU_CYCLE_1) | instskip(NEXT) | instid1(SALU_CYCLE_1)
	s_add_nc_u64 s[68:69], s[2:3], s[68:69]
	s_add_co_u32 s64, s64, s68
	s_cselect_b32 s0, -1, 0
	s_delay_alu instid0(SALU_CYCLE_1) | instskip(SKIP_1) | instid1(SALU_CYCLE_1)
	s_cmp_lg_u32 s0, 0
	s_add_co_ci_u32 s65, s65, s69
	s_mul_u64 s[66:67], s[66:67], s[64:65]
	s_delay_alu instid0(SALU_CYCLE_1)
	s_mul_hi_u32 s69, s64, s67
	s_mul_i32 s68, s64, s67
	s_mul_hi_u32 s2, s64, s66
	s_mul_i32 s31, s65, s66
	s_add_nc_u64 s[68:69], s[2:3], s[68:69]
	s_mul_hi_u32 s0, s65, s66
	s_mul_hi_u32 s61, s65, s67
	s_add_co_u32 s2, s68, s31
	s_add_co_ci_u32 s2, s69, s0
	s_mul_i32 s66, s65, s67
	s_add_co_ci_u32 s67, s61, 0
	s_delay_alu instid0(SALU_CYCLE_1) | instskip(NEXT) | instid1(SALU_CYCLE_1)
	s_add_nc_u64 s[66:67], s[2:3], s[66:67]
	s_add_co_u32 s0, s64, s66
	s_cselect_b32 s2, -1, 0
	v_nop
	v_mul_hi_u32 v22, v14, s0
	s_cmp_lg_u32 s2, 0
	s_add_co_ci_u32 s2, s65, s67
	s_and_b64 s[64:65], s[0:1], s[28:29]
	v_mul_u64_e32 v[16:17], s[2:3], v[14:15]
	v_mul_u64_e32 v[12:13], s[64:65], v[18:19]
	;; [unrolled: 1-line block ×3, first 2 shown]
	s_delay_alu instid0(VALU_DEP_3) | instskip(NEXT) | instid1(VALU_DEP_1)
	v_add_nc_u64_e32 v[16:17], v[22:23], v[16:17]
	v_add_co_u32 v3, vcc_lo, v16, v12
	s_delay_alu instid0(VALU_DEP_2) | instskip(NEXT) | instid1(VALU_DEP_4)
	v_add_co_ci_u32_e32 v22, vcc_lo, v17, v13, vcc_lo
	v_add_co_ci_u32_e32 v21, vcc_lo, 0, v21, vcc_lo
	s_delay_alu instid0(VALU_DEP_1) | instskip(NEXT) | instid1(VALU_DEP_1)
	v_add_nc_u64_e32 v[12:13], v[22:23], v[20:21]
	v_mul_u64_e32 v[16:17], s[62:63], v[12:13]
	s_delay_alu instid0(VALU_DEP_1) | instskip(NEXT) | instid1(VALU_DEP_2)
	v_sub_nc_u32_e32 v3, v18, v17
	v_sub_co_u32 v11, vcc_lo, v14, v16
	s_delay_alu instid0(VALU_DEP_1) | instskip(NEXT) | instid1(VALU_DEP_3)
	v_sub_co_ci_u32_e64 v18, null, v18, v17, vcc_lo
	v_subrev_co_ci_u32_e64 v3, null, s63, v3, vcc_lo
	s_delay_alu instid0(VALU_DEP_3) | instskip(SKIP_1) | instid1(VALU_DEP_3)
	v_sub_co_u32 v14, s0, v11, s62
	v_add_nc_u64_e32 v[16:17], 1, v[12:13]
	v_subrev_co_ci_u32_e64 v3, null, 0, v3, s0
	s_delay_alu instid0(VALU_DEP_3) | instskip(SKIP_1) | instid1(VALU_DEP_3)
	v_cmp_le_u32_e32 vcc_lo, s62, v14
	v_cndmask_b32_e64 v14, 0, -1, vcc_lo
	v_cmp_le_u32_e32 vcc_lo, s63, v3
	v_cndmask_b32_e64 v15, 0, -1, vcc_lo
	;; [unrolled: 2-line block ×4, first 2 shown]
	v_cmp_eq_u32_e32 vcc_lo, s63, v3
	v_cndmask_b32_e32 v3, v15, v14, vcc_lo
	v_cmp_eq_u32_e32 vcc_lo, s63, v18
	v_add_nc_u64_e32 v[14:15], 2, v[12:13]
	v_cndmask_b32_e32 v11, v19, v11, vcc_lo
	s_delay_alu instid0(VALU_DEP_4) | instskip(NEXT) | instid1(VALU_DEP_2)
	v_cmp_ne_u32_e32 vcc_lo, 0, v3
	v_cmp_ne_u32_e64 s0, 0, v11
	s_delay_alu instid0(VALU_DEP_4) | instskip(NEXT) | instid1(VALU_DEP_1)
	v_dual_cndmask_b32 v3, v17, v15, vcc_lo :: v_dual_cndmask_b32 v11, v16, v14, vcc_lo
	v_dual_cndmask_b32 v3, v13, v3, s0 :: v_dual_bitop2_b32 v14, s60, v10 bitop3:0x14
	s_delay_alu instid0(VALU_DEP_1) | instskip(NEXT) | instid1(VALU_DEP_2)
	v_dual_mov_b32 v15, v14 :: v_dual_cndmask_b32 v11, v12, v11, s0
	v_xor_b32_e32 v13, v3, v14
	s_delay_alu instid0(VALU_DEP_2) | instskip(NEXT) | instid1(VALU_DEP_1)
	v_xor_b32_e32 v12, v11, v14
	v_sub_nc_u64_e32 v[16:17], v[12:13], v[14:15]
.LBB4_10:                               ;   in Loop: Header=BB4_4 Depth=1
	s_and_not1_saveexec_b32 s0, s1
	s_cbranch_execz .LBB4_12
; %bb.11:                               ;   in Loop: Header=BB4_4 Depth=1
	v_cvt_f32_u32_e32 v3, s14
	s_sub_co_i32 s1, 0, s14
	v_mov_b32_e32 v17, v2
	s_delay_alu instid0(VALU_DEP_2) | instskip(SKIP_1) | instid1(TRANS32_DEP_1)
	v_rcp_iflag_f32_e32 v3, v3
	v_nop
	v_mul_f32_e32 v3, 0x4f7ffffe, v3
	s_delay_alu instid0(VALU_DEP_1) | instskip(NEXT) | instid1(VALU_DEP_1)
	v_cvt_u32_f32_e32 v3, v3
	v_mul_lo_u32 v11, s1, v3
	s_delay_alu instid0(VALU_DEP_1) | instskip(NEXT) | instid1(VALU_DEP_1)
	v_mul_hi_u32 v11, v3, v11
	v_add_nc_u32_e32 v3, v3, v11
	s_delay_alu instid0(VALU_DEP_1) | instskip(NEXT) | instid1(VALU_DEP_1)
	v_mul_hi_u32 v3, v6, v3
	v_mul_lo_u32 v11, v3, s14
	s_delay_alu instid0(VALU_DEP_1) | instskip(NEXT) | instid1(VALU_DEP_1)
	v_sub_nc_u32_e32 v11, v6, v11
	v_subrev_nc_u32_e32 v13, s14, v11
	v_cmp_le_u32_e32 vcc_lo, s14, v11
	s_delay_alu instid0(VALU_DEP_2) | instskip(NEXT) | instid1(VALU_DEP_1)
	v_dual_cndmask_b32 v11, v11, v13 :: v_dual_add_nc_u32 v12, 1, v3
	v_cndmask_b32_e32 v3, v3, v12, vcc_lo
	s_delay_alu instid0(VALU_DEP_2) | instskip(NEXT) | instid1(VALU_DEP_2)
	v_cmp_le_u32_e32 vcc_lo, s14, v11
	v_add_nc_u32_e32 v12, 1, v3
	s_delay_alu instid0(VALU_DEP_1)
	v_cndmask_b32_e32 v16, v3, v12, vcc_lo
.LBB4_12:                               ;   in Loop: Header=BB4_4 Depth=1
	s_or_b32 exec_lo, exec_lo, s0
	s_delay_alu instid0(VALU_DEP_1) | instskip(SKIP_1) | instid1(VALU_DEP_1)
	v_or_b32_e32 v3, s13, v17
                                        ; implicit-def: $vgpr12_vgpr13
	s_mov_b32 s0, exec_lo
	v_cmpx_ne_u64_e32 0, v[2:3]
	s_xor_b32 s1, exec_lo, s0
	s_cbranch_execz .LBB4_14
; %bb.13:                               ;   in Loop: Header=BB4_4 Depth=1
	s_ashr_i32 s60, s13, 31
	v_dual_mov_b32 v19, v2 :: v_dual_ashrrev_i32 v12, 31, v17
	s_mov_b32 s61, s60
	v_mov_b32_e32 v27, v2
	s_add_nc_u64 s[62:63], s[12:13], s[60:61]
	s_delay_alu instid0(VALU_DEP_2) | instskip(SKIP_1) | instid1(SALU_CYCLE_1)
	v_mov_b32_e32 v13, v12
	s_xor_b64 s[60:61], s[62:63], s[60:61]
	s_cvt_f32_u32 s0, s60
	s_cvt_f32_u32 s2, s61
	s_sub_nc_u64 s[64:65], 0, s[60:61]
	v_add_nc_u64_e32 v[14:15], v[16:17], v[12:13]
	v_mov_b32_e32 v23, v2
	s_fmamk_f32 s0, s2, 0x4f800000, s0
	s_delay_alu instid0(SALU_CYCLE_3) | instskip(NEXT) | instid1(VALU_DEP_2)
	v_s_rcp_f32 s0, s0
	v_xor_b32_e32 v18, v14, v12
	s_delay_alu instid0(VALU_DEP_3) | instskip(NEXT) | instid1(TRANS32_DEP_1)
	v_xor_b32_e32 v22, v15, v12
	s_mul_f32 s0, s0, 0x5f7ffffc
	s_delay_alu instid0(SALU_CYCLE_3) | instskip(NEXT) | instid1(SALU_CYCLE_3)
	s_mul_f32 s2, s0, 0x2f800000
	s_trunc_f32 s2, s2
	s_delay_alu instid0(SALU_CYCLE_3) | instskip(SKIP_1) | instid1(SALU_CYCLE_2)
	s_fmamk_f32 s0, s2, 0xcf800000, s0
	s_cvt_u32_f32 s63, s2
	s_cvt_u32_f32 s62, s0
	s_delay_alu instid0(SALU_CYCLE_3) | instskip(NEXT) | instid1(SALU_CYCLE_1)
	s_mul_u64 s[66:67], s[64:65], s[62:63]
	s_mul_hi_u32 s69, s62, s67
	s_mul_i32 s68, s62, s67
	s_mul_hi_u32 s2, s62, s66
	s_mul_i32 s31, s63, s66
	s_add_nc_u64 s[68:69], s[2:3], s[68:69]
	s_mul_hi_u32 s0, s63, s66
	s_mul_hi_u32 s70, s63, s67
	s_add_co_u32 s2, s68, s31
	s_add_co_ci_u32 s2, s69, s0
	s_mul_i32 s66, s63, s67
	s_add_co_ci_u32 s67, s70, 0
	s_delay_alu instid0(SALU_CYCLE_1) | instskip(NEXT) | instid1(SALU_CYCLE_1)
	s_add_nc_u64 s[66:67], s[2:3], s[66:67]
	s_add_co_u32 s62, s62, s66
	s_cselect_b32 s0, -1, 0
	s_delay_alu instid0(SALU_CYCLE_1) | instskip(SKIP_1) | instid1(SALU_CYCLE_1)
	s_cmp_lg_u32 s0, 0
	s_add_co_ci_u32 s63, s63, s67
	s_mul_u64 s[64:65], s[64:65], s[62:63]
	s_delay_alu instid0(SALU_CYCLE_1)
	s_mul_hi_u32 s67, s62, s65
	s_mul_i32 s66, s62, s65
	s_mul_hi_u32 s2, s62, s64
	s_mul_i32 s31, s63, s64
	s_add_nc_u64 s[66:67], s[2:3], s[66:67]
	s_mul_hi_u32 s0, s63, s64
	s_mul_hi_u32 s68, s63, s65
	s_add_co_u32 s2, s66, s31
	s_add_co_ci_u32 s2, s67, s0
	s_mul_i32 s64, s63, s65
	s_add_co_ci_u32 s65, s68, 0
	s_delay_alu instid0(SALU_CYCLE_1) | instskip(NEXT) | instid1(SALU_CYCLE_1)
	s_add_nc_u64 s[64:65], s[2:3], s[64:65]
	s_add_co_u32 s0, s62, s64
	s_cselect_b32 s2, -1, 0
	v_mul_hi_u32 v26, v18, s0
	s_cmp_lg_u32 s2, 0
	s_add_co_ci_u32 s2, s63, s65
	s_and_b64 s[62:63], s[0:1], s[28:29]
	v_mul_u64_e32 v[20:21], s[2:3], v[18:19]
	v_mul_u64_e32 v[14:15], s[62:63], v[22:23]
	;; [unrolled: 1-line block ×3, first 2 shown]
	s_delay_alu instid0(VALU_DEP_3) | instskip(NEXT) | instid1(VALU_DEP_1)
	v_add_nc_u64_e32 v[20:21], v[26:27], v[20:21]
	v_add_co_u32 v3, vcc_lo, v20, v14
	s_delay_alu instid0(VALU_DEP_2) | instskip(NEXT) | instid1(VALU_DEP_4)
	v_add_co_ci_u32_e32 v26, vcc_lo, v21, v15, vcc_lo
	v_add_co_ci_u32_e32 v25, vcc_lo, 0, v25, vcc_lo
	s_delay_alu instid0(VALU_DEP_1) | instskip(NEXT) | instid1(VALU_DEP_1)
	v_add_nc_u64_e32 v[14:15], v[26:27], v[24:25]
	v_mul_u64_e32 v[14:15], s[60:61], v[14:15]
	s_delay_alu instid0(VALU_DEP_1) | instskip(NEXT) | instid1(VALU_DEP_2)
	v_sub_nc_u32_e32 v3, v22, v15
	v_sub_co_u32 v11, vcc_lo, v18, v14
	s_delay_alu instid0(VALU_DEP_1) | instskip(NEXT) | instid1(VALU_DEP_3)
	v_sub_co_ci_u32_e64 v14, null, v22, v15, vcc_lo
	v_subrev_co_ci_u32_e64 v3, null, s61, v3, vcc_lo
	s_delay_alu instid0(VALU_DEP_3) | instskip(SKIP_1) | instid1(VALU_DEP_3)
	v_sub_co_u32 v15, vcc_lo, v11, s60
	v_cmp_le_u32_e64 s0, s60, v11
	v_subrev_co_ci_u32_e64 v18, null, 0, v3, vcc_lo
	v_subrev_co_ci_u32_e64 v3, null, s61, v3, vcc_lo
	s_delay_alu instid0(VALU_DEP_3) | instskip(SKIP_2) | instid1(VALU_DEP_2)
	v_cndmask_b32_e64 v19, 0, -1, s0
	v_cmp_le_u32_e64 s0, s60, v15
	v_cmp_le_u32_e32 vcc_lo, s61, v14
	v_cndmask_b32_e64 v20, 0, -1, s0
	v_cmp_le_u32_e64 s0, s61, v18
	v_cndmask_b32_e64 v22, 0, -1, vcc_lo
	v_cmp_eq_u32_e32 vcc_lo, s61, v18
	s_delay_alu instid0(VALU_DEP_3) | instskip(SKIP_1) | instid1(VALU_DEP_2)
	v_cndmask_b32_e64 v21, 0, -1, s0
	v_cmp_eq_u32_e64 s0, s61, v14
	v_cndmask_b32_e32 v20, v21, v20, vcc_lo
	v_sub_co_u32 v21, vcc_lo, v15, s60
	s_delay_alu instid0(VALU_DEP_1) | instskip(NEXT) | instid1(VALU_DEP_3)
	v_subrev_co_ci_u32_e64 v3, null, 0, v3, vcc_lo
	v_cmp_ne_u32_e32 vcc_lo, 0, v20
	v_cndmask_b32_e64 v19, v22, v19, s0
	s_delay_alu instid0(VALU_DEP_3) | instskip(NEXT) | instid1(VALU_DEP_2)
	v_dual_cndmask_b32 v3, v18, v3, vcc_lo :: v_dual_cndmask_b32 v15, v15, v21, vcc_lo
	v_cmp_ne_u32_e32 vcc_lo, 0, v19
	s_delay_alu instid0(VALU_DEP_2) | instskip(NEXT) | instid1(VALU_DEP_3)
	v_cndmask_b32_e32 v3, v14, v3, vcc_lo
	v_cndmask_b32_e32 v11, v11, v15, vcc_lo
	s_delay_alu instid0(VALU_DEP_2) | instskip(NEXT) | instid1(VALU_DEP_2)
	v_xor_b32_e32 v15, v3, v12
	v_xor_b32_e32 v14, v11, v12
	s_delay_alu instid0(VALU_DEP_1)
	v_sub_nc_u64_e32 v[12:13], v[14:15], v[12:13]
.LBB4_14:                               ;   in Loop: Header=BB4_4 Depth=1
	s_and_not1_saveexec_b32 s0, s1
	s_cbranch_execz .LBB4_16
; %bb.15:                               ;   in Loop: Header=BB4_4 Depth=1
	v_cvt_f32_u32_e32 v3, s12
	s_sub_co_i32 s1, 0, s12
	v_mov_b32_e32 v13, v2
	s_delay_alu instid0(VALU_DEP_2) | instskip(SKIP_1) | instid1(TRANS32_DEP_1)
	v_rcp_iflag_f32_e32 v3, v3
	v_nop
	v_mul_f32_e32 v3, 0x4f7ffffe, v3
	s_delay_alu instid0(VALU_DEP_1) | instskip(NEXT) | instid1(VALU_DEP_1)
	v_cvt_u32_f32_e32 v3, v3
	v_mul_lo_u32 v11, s1, v3
	s_delay_alu instid0(VALU_DEP_1) | instskip(NEXT) | instid1(VALU_DEP_1)
	v_mul_hi_u32 v11, v3, v11
	v_add_nc_u32_e32 v3, v3, v11
	s_delay_alu instid0(VALU_DEP_1) | instskip(NEXT) | instid1(VALU_DEP_1)
	v_mul_hi_u32 v3, v16, v3
	v_mul_lo_u32 v3, v3, s12
	s_delay_alu instid0(VALU_DEP_1) | instskip(NEXT) | instid1(VALU_DEP_1)
	v_sub_nc_u32_e32 v3, v16, v3
	v_subrev_nc_u32_e32 v11, s12, v3
	v_cmp_le_u32_e32 vcc_lo, s12, v3
	s_delay_alu instid0(VALU_DEP_2) | instskip(NEXT) | instid1(VALU_DEP_1)
	v_cndmask_b32_e32 v3, v3, v11, vcc_lo
	v_subrev_nc_u32_e32 v11, s12, v3
	v_cmp_le_u32_e32 vcc_lo, s12, v3
	s_delay_alu instid0(VALU_DEP_2)
	v_cndmask_b32_e32 v12, v3, v11, vcc_lo
.LBB4_16:                               ;   in Loop: Header=BB4_4 Depth=1
	s_or_b32 exec_lo, exec_lo, s0
	v_or_b32_e32 v3, s25, v7
                                        ; implicit-def: $vgpr14_vgpr15
	s_mov_b32 s0, exec_lo
	s_delay_alu instid0(VALU_DEP_1)
	v_cmpx_ne_u64_e32 0, v[2:3]
	s_xor_b32 s1, exec_lo, s0
	s_cbranch_execz .LBB4_18
; %bb.17:                               ;   in Loop: Header=BB4_4 Depth=1
	s_ashr_i32 s60, s25, 31
	v_dual_mov_b32 v11, v10 :: v_dual_mov_b32 v19, v2
	s_mov_b32 s61, s60
	v_mov_b32_e32 v27, v2
	s_add_nc_u64 s[62:63], s[24:25], s[60:61]
	s_delay_alu instid0(VALU_DEP_2)
	v_add_nc_u64_e32 v[14:15], v[6:7], v[10:11]
	s_xor_b64 s[62:63], s[62:63], s[60:61]
	v_mov_b32_e32 v23, v2
	s_cvt_f32_u32 s0, s62
	s_cvt_f32_u32 s2, s63
	s_sub_nc_u64 s[66:67], 0, s[62:63]
	s_delay_alu instid0(VALU_DEP_2) | instskip(NEXT) | instid1(SALU_CYCLE_1)
	v_xor_b32_e32 v18, v14, v10
	s_fmamk_f32 s0, s2, 0x4f800000, s0
	v_xor_b32_e32 v22, v15, v10
	v_xor_b32_e32 v10, s60, v10
	s_delay_alu instid0(SALU_CYCLE_1) | instskip(NEXT) | instid1(TRANS32_DEP_1)
	v_s_rcp_f32 s0, s0
	s_mul_f32 s0, s0, 0x5f7ffffc
	s_delay_alu instid0(SALU_CYCLE_3) | instskip(NEXT) | instid1(SALU_CYCLE_3)
	s_mul_f32 s2, s0, 0x2f800000
	s_trunc_f32 s2, s2
	s_delay_alu instid0(SALU_CYCLE_3) | instskip(SKIP_1) | instid1(SALU_CYCLE_2)
	s_fmamk_f32 s0, s2, 0xcf800000, s0
	s_cvt_u32_f32 s65, s2
	s_cvt_u32_f32 s64, s0
	s_delay_alu instid0(SALU_CYCLE_3) | instskip(NEXT) | instid1(SALU_CYCLE_1)
	s_mul_u64 s[68:69], s[66:67], s[64:65]
	s_mul_hi_u32 s71, s64, s69
	s_mul_i32 s70, s64, s69
	s_mul_hi_u32 s2, s64, s68
	s_mul_i32 s31, s65, s68
	s_add_nc_u64 s[70:71], s[2:3], s[70:71]
	s_mul_hi_u32 s0, s65, s68
	s_mul_hi_u32 s61, s65, s69
	s_add_co_u32 s2, s70, s31
	s_add_co_ci_u32 s2, s71, s0
	s_mul_i32 s68, s65, s69
	s_add_co_ci_u32 s69, s61, 0
	s_delay_alu instid0(SALU_CYCLE_1) | instskip(NEXT) | instid1(SALU_CYCLE_1)
	s_add_nc_u64 s[68:69], s[2:3], s[68:69]
	s_add_co_u32 s64, s64, s68
	s_cselect_b32 s0, -1, 0
	s_delay_alu instid0(SALU_CYCLE_1) | instskip(SKIP_1) | instid1(SALU_CYCLE_1)
	s_cmp_lg_u32 s0, 0
	s_add_co_ci_u32 s65, s65, s69
	s_mul_u64 s[66:67], s[66:67], s[64:65]
	s_delay_alu instid0(SALU_CYCLE_1)
	s_mul_hi_u32 s69, s64, s67
	s_mul_i32 s68, s64, s67
	s_mul_hi_u32 s2, s64, s66
	s_mul_i32 s31, s65, s66
	s_add_nc_u64 s[68:69], s[2:3], s[68:69]
	s_mul_hi_u32 s0, s65, s66
	s_mul_hi_u32 s61, s65, s67
	s_add_co_u32 s2, s68, s31
	s_add_co_ci_u32 s2, s69, s0
	s_mul_i32 s66, s65, s67
	s_add_co_ci_u32 s67, s61, 0
	s_delay_alu instid0(SALU_CYCLE_1) | instskip(NEXT) | instid1(SALU_CYCLE_1)
	s_add_nc_u64 s[66:67], s[2:3], s[66:67]
	s_add_co_u32 s0, s64, s66
	s_cselect_b32 s2, -1, 0
	v_nop
	v_mul_hi_u32 v26, v18, s0
	s_cmp_lg_u32 s2, 0
	s_add_co_ci_u32 s2, s65, s67
	s_and_b64 s[64:65], s[0:1], s[28:29]
	v_mul_u64_e32 v[20:21], s[2:3], v[18:19]
	v_mul_u64_e32 v[14:15], s[64:65], v[22:23]
	v_mul_u64_e32 v[24:25], s[2:3], v[22:23]
	s_delay_alu instid0(VALU_DEP_3) | instskip(NEXT) | instid1(VALU_DEP_1)
	v_add_nc_u64_e32 v[20:21], v[26:27], v[20:21]
	v_add_co_u32 v3, vcc_lo, v20, v14
	s_delay_alu instid0(VALU_DEP_2) | instskip(NEXT) | instid1(VALU_DEP_4)
	v_add_co_ci_u32_e32 v26, vcc_lo, v21, v15, vcc_lo
	v_add_co_ci_u32_e32 v25, vcc_lo, 0, v25, vcc_lo
	s_delay_alu instid0(VALU_DEP_1) | instskip(NEXT) | instid1(VALU_DEP_1)
	v_add_nc_u64_e32 v[14:15], v[26:27], v[24:25]
	v_mul_u64_e32 v[20:21], s[62:63], v[14:15]
	s_delay_alu instid0(VALU_DEP_1) | instskip(NEXT) | instid1(VALU_DEP_2)
	v_sub_nc_u32_e32 v3, v22, v21
	v_sub_co_u32 v11, vcc_lo, v18, v20
	s_delay_alu instid0(VALU_DEP_1) | instskip(NEXT) | instid1(VALU_DEP_3)
	v_sub_co_ci_u32_e64 v22, null, v22, v21, vcc_lo
	v_subrev_co_ci_u32_e64 v3, null, s63, v3, vcc_lo
	s_delay_alu instid0(VALU_DEP_3) | instskip(SKIP_1) | instid1(VALU_DEP_3)
	v_sub_co_u32 v18, s0, v11, s62
	v_add_nc_u64_e32 v[20:21], 1, v[14:15]
	v_subrev_co_ci_u32_e64 v3, null, 0, v3, s0
	s_delay_alu instid0(VALU_DEP_3) | instskip(SKIP_1) | instid1(VALU_DEP_3)
	v_cmp_le_u32_e32 vcc_lo, s62, v18
	v_cndmask_b32_e64 v18, 0, -1, vcc_lo
	v_cmp_le_u32_e32 vcc_lo, s63, v3
	v_cndmask_b32_e64 v19, 0, -1, vcc_lo
	;; [unrolled: 2-line block ×4, first 2 shown]
	v_cmp_eq_u32_e32 vcc_lo, s63, v3
	v_cndmask_b32_e32 v3, v19, v18, vcc_lo
	v_cmp_eq_u32_e32 vcc_lo, s63, v22
	v_add_nc_u64_e32 v[18:19], 2, v[14:15]
	v_cndmask_b32_e32 v11, v23, v11, vcc_lo
	s_delay_alu instid0(VALU_DEP_4) | instskip(NEXT) | instid1(VALU_DEP_2)
	v_cmp_ne_u32_e32 vcc_lo, 0, v3
	v_cmp_ne_u32_e64 s0, 0, v11
	s_delay_alu instid0(VALU_DEP_4) | instskip(NEXT) | instid1(VALU_DEP_1)
	v_dual_cndmask_b32 v3, v21, v19, vcc_lo :: v_dual_cndmask_b32 v11, v20, v18, vcc_lo
	v_cndmask_b32_e64 v3, v15, v3, s0
	s_delay_alu instid0(VALU_DEP_2) | instskip(NEXT) | instid1(VALU_DEP_2)
	v_cndmask_b32_e64 v14, v14, v11, s0
	v_dual_mov_b32 v11, v10 :: v_dual_bitop2_b32 v15, v3, v10 bitop3:0x14
	s_delay_alu instid0(VALU_DEP_2) | instskip(NEXT) | instid1(VALU_DEP_1)
	v_xor_b32_e32 v14, v14, v10
	v_sub_nc_u64_e32 v[14:15], v[14:15], v[10:11]
.LBB4_18:                               ;   in Loop: Header=BB4_4 Depth=1
	s_and_not1_saveexec_b32 s0, s1
	s_cbranch_execz .LBB4_20
; %bb.19:                               ;   in Loop: Header=BB4_4 Depth=1
	v_cvt_f32_u32_e32 v3, s24
	s_sub_co_i32 s1, 0, s24
	v_mov_b32_e32 v15, v2
	s_delay_alu instid0(VALU_DEP_2) | instskip(SKIP_1) | instid1(TRANS32_DEP_1)
	v_rcp_iflag_f32_e32 v3, v3
	v_nop
	v_mul_f32_e32 v3, 0x4f7ffffe, v3
	s_delay_alu instid0(VALU_DEP_1) | instskip(NEXT) | instid1(VALU_DEP_1)
	v_cvt_u32_f32_e32 v3, v3
	v_mul_lo_u32 v10, s1, v3
	s_delay_alu instid0(VALU_DEP_1) | instskip(NEXT) | instid1(VALU_DEP_1)
	v_mul_hi_u32 v10, v3, v10
	v_add_nc_u32_e32 v3, v3, v10
	s_delay_alu instid0(VALU_DEP_1) | instskip(NEXT) | instid1(VALU_DEP_1)
	v_mul_hi_u32 v3, v6, v3
	v_mul_lo_u32 v10, v3, s24
	s_delay_alu instid0(VALU_DEP_1) | instskip(NEXT) | instid1(VALU_DEP_1)
	v_sub_nc_u32_e32 v10, v6, v10
	v_subrev_nc_u32_e32 v14, s24, v10
	v_cmp_le_u32_e32 vcc_lo, s24, v10
	s_delay_alu instid0(VALU_DEP_2) | instskip(NEXT) | instid1(VALU_DEP_1)
	v_dual_cndmask_b32 v10, v10, v14 :: v_dual_add_nc_u32 v11, 1, v3
	v_cndmask_b32_e32 v3, v3, v11, vcc_lo
	s_delay_alu instid0(VALU_DEP_2) | instskip(NEXT) | instid1(VALU_DEP_2)
	v_cmp_le_u32_e32 vcc_lo, s24, v10
	v_add_nc_u32_e32 v11, 1, v3
	s_delay_alu instid0(VALU_DEP_1)
	v_cndmask_b32_e32 v14, v3, v11, vcc_lo
.LBB4_20:                               ;   in Loop: Header=BB4_4 Depth=1
	s_or_b32 exec_lo, exec_lo, s0
	v_mul_u64_e32 v[16:17], s[14:15], v[16:17]
	s_mov_b32 s1, exec_lo
	s_delay_alu instid0(VALU_DEP_1) | instskip(NEXT) | instid1(VALU_DEP_1)
	v_sub_nc_u64_e32 v[10:11], v[6:7], v[16:17]
	v_add_nc_u64_e32 v[18:19], s[38:39], v[10:11]
	v_mov_b64_e32 v[10:11], 0
	s_delay_alu instid0(VALU_DEP_2)
	v_cmpx_lt_i64_e64 s[34:35], v[18:19]
	s_cbranch_execz .LBB4_26
; %bb.21:                               ;   in Loop: Header=BB4_4 Depth=1
	v_add_nc_u64_e32 v[10:11], s[58:59], v[18:19]
                                        ; implicit-def: $vgpr20_vgpr21
	s_mov_b32 s0, exec_lo
	s_delay_alu instid0(VALU_DEP_1) | instskip(NEXT) | instid1(VALU_DEP_1)
	v_or_b32_e32 v3, s43, v11
	v_cmpx_ne_u64_e32 0, v[2:3]
	s_xor_b32 s31, exec_lo, s0
	s_cbranch_execz .LBB4_23
; %bb.22:                               ;   in Loop: Header=BB4_4 Depth=1
	s_ashr_i32 s60, s43, 31
	v_dual_mov_b32 v23, v2 :: v_dual_ashrrev_i32 v20, 31, v11
	s_mov_b32 s61, s60
	v_mov_b32_e32 v31, v2
	s_add_nc_u64 s[62:63], s[42:43], s[60:61]
	s_delay_alu instid0(VALU_DEP_2) | instskip(SKIP_1) | instid1(SALU_CYCLE_1)
	v_mov_b32_e32 v21, v20
	s_xor_b64 s[62:63], s[62:63], s[60:61]
	s_cvt_f32_u32 s0, s62
	s_cvt_f32_u32 s2, s63
	s_sub_nc_u64 s[66:67], 0, s[62:63]
	v_add_nc_u64_e32 v[10:11], v[10:11], v[20:21]
	v_mov_b32_e32 v27, v2
	s_fmamk_f32 s0, s2, 0x4f800000, s0
	s_delay_alu instid0(SALU_CYCLE_3) | instskip(NEXT) | instid1(VALU_DEP_2)
	v_s_rcp_f32 s0, s0
	v_xor_b32_e32 v22, v10, v20
	s_delay_alu instid0(VALU_DEP_3) | instskip(NEXT) | instid1(TRANS32_DEP_1)
	v_xor_b32_e32 v26, v11, v20
	s_mul_f32 s0, s0, 0x5f7ffffc
	s_delay_alu instid0(SALU_CYCLE_3) | instskip(NEXT) | instid1(SALU_CYCLE_3)
	s_mul_f32 s2, s0, 0x2f800000
	s_trunc_f32 s2, s2
	s_delay_alu instid0(SALU_CYCLE_3) | instskip(SKIP_1) | instid1(SALU_CYCLE_2)
	s_fmamk_f32 s0, s2, 0xcf800000, s0
	s_cvt_u32_f32 s65, s2
	s_cvt_u32_f32 s64, s0
	s_delay_alu instid0(SALU_CYCLE_3) | instskip(NEXT) | instid1(SALU_CYCLE_1)
	s_mul_u64 s[68:69], s[66:67], s[64:65]
	s_mul_hi_u32 s71, s64, s69
	s_mul_i32 s70, s64, s69
	s_mul_hi_u32 s2, s64, s68
	s_mul_i32 s61, s65, s68
	s_add_nc_u64 s[70:71], s[2:3], s[70:71]
	s_mul_hi_u32 s0, s65, s68
	s_mul_hi_u32 s72, s65, s69
	s_add_co_u32 s2, s70, s61
	s_add_co_ci_u32 s2, s71, s0
	s_mul_i32 s68, s65, s69
	s_add_co_ci_u32 s69, s72, 0
	s_delay_alu instid0(SALU_CYCLE_1) | instskip(NEXT) | instid1(SALU_CYCLE_1)
	s_add_nc_u64 s[68:69], s[2:3], s[68:69]
	s_add_co_u32 s64, s64, s68
	s_cselect_b32 s0, -1, 0
	s_delay_alu instid0(SALU_CYCLE_1) | instskip(SKIP_1) | instid1(SALU_CYCLE_1)
	s_cmp_lg_u32 s0, 0
	s_add_co_ci_u32 s65, s65, s69
	s_mul_u64 s[66:67], s[66:67], s[64:65]
	s_delay_alu instid0(SALU_CYCLE_1)
	s_mul_hi_u32 s69, s64, s67
	s_mul_i32 s68, s64, s67
	s_mul_hi_u32 s2, s64, s66
	s_mul_i32 s61, s65, s66
	s_add_nc_u64 s[68:69], s[2:3], s[68:69]
	s_mul_hi_u32 s0, s65, s66
	s_mul_hi_u32 s70, s65, s67
	s_add_co_u32 s2, s68, s61
	s_add_co_ci_u32 s2, s69, s0
	s_mul_i32 s66, s65, s67
	s_add_co_ci_u32 s67, s70, 0
	s_delay_alu instid0(SALU_CYCLE_1) | instskip(NEXT) | instid1(SALU_CYCLE_1)
	s_add_nc_u64 s[66:67], s[2:3], s[66:67]
	s_add_co_u32 s0, s64, s66
	s_cselect_b32 s2, -1, 0
	v_mul_hi_u32 v30, v22, s0
	s_cmp_lg_u32 s2, 0
	s_add_co_ci_u32 s2, s65, s67
	s_and_b64 s[64:65], s[0:1], s[28:29]
	v_mul_u64_e32 v[24:25], s[2:3], v[22:23]
	v_mul_u64_e32 v[10:11], s[64:65], v[26:27]
	;; [unrolled: 1-line block ×3, first 2 shown]
	s_delay_alu instid0(VALU_DEP_3) | instskip(NEXT) | instid1(VALU_DEP_1)
	v_add_nc_u64_e32 v[24:25], v[30:31], v[24:25]
	v_add_co_u32 v3, vcc_lo, v24, v10
	s_delay_alu instid0(VALU_DEP_2) | instskip(NEXT) | instid1(VALU_DEP_4)
	v_add_co_ci_u32_e32 v30, vcc_lo, v25, v11, vcc_lo
	v_add_co_ci_u32_e32 v29, vcc_lo, 0, v29, vcc_lo
	s_delay_alu instid0(VALU_DEP_1) | instskip(NEXT) | instid1(VALU_DEP_1)
	v_add_nc_u64_e32 v[10:11], v[30:31], v[28:29]
	v_mul_u64_e32 v[24:25], s[62:63], v[10:11]
	s_delay_alu instid0(VALU_DEP_1) | instskip(NEXT) | instid1(VALU_DEP_2)
	v_sub_nc_u32_e32 v3, v26, v25
	v_sub_co_u32 v21, vcc_lo, v22, v24
	s_delay_alu instid0(VALU_DEP_1) | instskip(NEXT) | instid1(VALU_DEP_3)
	v_sub_co_ci_u32_e64 v26, null, v26, v25, vcc_lo
	v_subrev_co_ci_u32_e64 v3, null, s63, v3, vcc_lo
	s_delay_alu instid0(VALU_DEP_3) | instskip(SKIP_1) | instid1(VALU_DEP_3)
	v_sub_co_u32 v22, s0, v21, s62
	v_add_nc_u64_e32 v[24:25], 1, v[10:11]
	v_subrev_co_ci_u32_e64 v3, null, 0, v3, s0
	s_delay_alu instid0(VALU_DEP_3) | instskip(SKIP_1) | instid1(VALU_DEP_3)
	v_cmp_le_u32_e32 vcc_lo, s62, v22
	v_cndmask_b32_e64 v22, 0, -1, vcc_lo
	v_cmp_le_u32_e32 vcc_lo, s63, v3
	v_cndmask_b32_e64 v23, 0, -1, vcc_lo
	;; [unrolled: 2-line block ×4, first 2 shown]
	v_cmp_eq_u32_e32 vcc_lo, s63, v3
	v_cndmask_b32_e32 v3, v23, v22, vcc_lo
	v_cmp_eq_u32_e32 vcc_lo, s63, v26
	v_add_nc_u64_e32 v[22:23], 2, v[10:11]
	v_cndmask_b32_e32 v21, v27, v21, vcc_lo
	s_delay_alu instid0(VALU_DEP_4) | instskip(NEXT) | instid1(VALU_DEP_3)
	v_cmp_ne_u32_e32 vcc_lo, 0, v3
	v_cndmask_b32_e32 v3, v25, v23, vcc_lo
	s_delay_alu instid0(VALU_DEP_3) | instskip(SKIP_1) | instid1(VALU_DEP_1)
	v_cmp_ne_u32_e64 s0, 0, v21
	v_dual_cndmask_b32 v21, v24, v22, vcc_lo :: v_dual_bitop2_b32 v20, s60, v20 bitop3:0x14
	v_dual_cndmask_b32 v3, v11, v3, s0 :: v_dual_cndmask_b32 v10, v10, v21, s0
	s_delay_alu instid0(VALU_DEP_1) | instskip(NEXT) | instid1(VALU_DEP_2)
	v_dual_mov_b32 v21, v20 :: v_dual_bitop2_b32 v11, v3, v20 bitop3:0x14
	v_xor_b32_e32 v10, v10, v20
	s_delay_alu instid0(VALU_DEP_1)
	v_sub_nc_u64_e32 v[20:21], v[10:11], v[20:21]
                                        ; implicit-def: $vgpr10_vgpr11
.LBB4_23:                               ;   in Loop: Header=BB4_4 Depth=1
	s_and_not1_saveexec_b32 s0, s31
	s_cbranch_execz .LBB4_25
; %bb.24:                               ;   in Loop: Header=BB4_4 Depth=1
	v_cvt_f32_u32_e32 v3, s42
	s_sub_co_i32 s2, 0, s42
	v_mov_b32_e32 v21, v2
	s_delay_alu instid0(VALU_DEP_2) | instskip(SKIP_1) | instid1(TRANS32_DEP_1)
	v_rcp_iflag_f32_e32 v3, v3
	v_nop
	v_mul_f32_e32 v3, 0x4f7ffffe, v3
	s_delay_alu instid0(VALU_DEP_1) | instskip(NEXT) | instid1(VALU_DEP_1)
	v_cvt_u32_f32_e32 v3, v3
	v_mul_lo_u32 v11, s2, v3
	s_delay_alu instid0(VALU_DEP_1) | instskip(NEXT) | instid1(VALU_DEP_1)
	v_mul_hi_u32 v11, v3, v11
	v_add_nc_u32_e32 v3, v3, v11
	s_delay_alu instid0(VALU_DEP_1) | instskip(NEXT) | instid1(VALU_DEP_1)
	v_mul_hi_u32 v3, v10, v3
	v_mul_lo_u32 v11, v3, s42
	s_delay_alu instid0(VALU_DEP_1) | instskip(SKIP_1) | instid1(VALU_DEP_2)
	v_sub_nc_u32_e32 v10, v10, v11
	v_add_nc_u32_e32 v11, 1, v3
	v_subrev_nc_u32_e32 v20, s42, v10
	v_cmp_le_u32_e32 vcc_lo, s42, v10
	s_delay_alu instid0(VALU_DEP_2) | instskip(NEXT) | instid1(VALU_DEP_1)
	v_dual_cndmask_b32 v10, v10, v20 :: v_dual_cndmask_b32 v3, v3, v11
	v_cmp_le_u32_e32 vcc_lo, s42, v10
	s_delay_alu instid0(VALU_DEP_2) | instskip(NEXT) | instid1(VALU_DEP_1)
	v_add_nc_u32_e32 v11, 1, v3
	v_cndmask_b32_e32 v20, v3, v11, vcc_lo
.LBB4_25:                               ;   in Loop: Header=BB4_4 Depth=1
	s_or_b32 exec_lo, exec_lo, s0
	s_delay_alu instid0(VALU_DEP_1)
	v_add_nc_u64_e32 v[10:11], 1, v[20:21]
.LBB4_26:                               ;   in Loop: Header=BB4_4 Depth=1
	s_or_b32 exec_lo, exec_lo, s1
	v_or_b32_e32 v3, s43, v19
                                        ; implicit-def: $vgpr22_vgpr23
	s_mov_b32 s0, exec_lo
	s_delay_alu instid0(VALU_DEP_1)
	v_cmpx_ne_u64_e32 0, v[2:3]
	s_xor_b32 s1, exec_lo, s0
	s_cbranch_execz .LBB4_28
; %bb.27:                               ;   in Loop: Header=BB4_4 Depth=1
	s_ashr_i32 s60, s43, 31
	v_dual_mov_b32 v23, v2 :: v_dual_ashrrev_i32 v20, 31, v19
	s_mov_b32 s61, s60
	v_mov_b32_e32 v31, v2
	s_add_nc_u64 s[62:63], s[42:43], s[60:61]
	s_delay_alu instid0(VALU_DEP_2) | instskip(SKIP_1) | instid1(SALU_CYCLE_1)
	v_mov_b32_e32 v21, v20
	s_xor_b64 s[62:63], s[62:63], s[60:61]
	s_cvt_f32_u32 s0, s62
	s_cvt_f32_u32 s2, s63
	s_sub_nc_u64 s[66:67], 0, s[62:63]
	v_add_nc_u64_e32 v[18:19], v[18:19], v[20:21]
	v_mov_b32_e32 v27, v2
	s_fmamk_f32 s0, s2, 0x4f800000, s0
	s_delay_alu instid0(SALU_CYCLE_3) | instskip(NEXT) | instid1(VALU_DEP_2)
	v_s_rcp_f32 s0, s0
	v_xor_b32_e32 v22, v18, v20
	s_delay_alu instid0(VALU_DEP_3) | instskip(NEXT) | instid1(TRANS32_DEP_1)
	v_xor_b32_e32 v26, v19, v20
	s_mul_f32 s0, s0, 0x5f7ffffc
	s_delay_alu instid0(SALU_CYCLE_3) | instskip(NEXT) | instid1(SALU_CYCLE_3)
	s_mul_f32 s2, s0, 0x2f800000
	s_trunc_f32 s2, s2
	s_delay_alu instid0(SALU_CYCLE_3) | instskip(SKIP_1) | instid1(SALU_CYCLE_2)
	s_fmamk_f32 s0, s2, 0xcf800000, s0
	s_cvt_u32_f32 s65, s2
	s_cvt_u32_f32 s64, s0
	s_delay_alu instid0(SALU_CYCLE_3) | instskip(NEXT) | instid1(SALU_CYCLE_1)
	s_mul_u64 s[68:69], s[66:67], s[64:65]
	s_mul_hi_u32 s71, s64, s69
	s_mul_i32 s70, s64, s69
	s_mul_hi_u32 s2, s64, s68
	s_mul_i32 s31, s65, s68
	s_add_nc_u64 s[70:71], s[2:3], s[70:71]
	s_mul_hi_u32 s0, s65, s68
	s_mul_hi_u32 s61, s65, s69
	s_add_co_u32 s2, s70, s31
	s_add_co_ci_u32 s2, s71, s0
	s_mul_i32 s68, s65, s69
	s_add_co_ci_u32 s69, s61, 0
	s_delay_alu instid0(SALU_CYCLE_1) | instskip(NEXT) | instid1(SALU_CYCLE_1)
	s_add_nc_u64 s[68:69], s[2:3], s[68:69]
	s_add_co_u32 s64, s64, s68
	s_cselect_b32 s0, -1, 0
	s_delay_alu instid0(SALU_CYCLE_1) | instskip(SKIP_1) | instid1(SALU_CYCLE_1)
	s_cmp_lg_u32 s0, 0
	s_add_co_ci_u32 s65, s65, s69
	s_mul_u64 s[66:67], s[66:67], s[64:65]
	s_delay_alu instid0(SALU_CYCLE_1)
	s_mul_hi_u32 s69, s64, s67
	s_mul_i32 s68, s64, s67
	s_mul_hi_u32 s2, s64, s66
	s_mul_i32 s31, s65, s66
	s_add_nc_u64 s[68:69], s[2:3], s[68:69]
	s_mul_hi_u32 s0, s65, s66
	s_mul_hi_u32 s61, s65, s67
	s_add_co_u32 s2, s68, s31
	s_add_co_ci_u32 s2, s69, s0
	s_mul_i32 s66, s65, s67
	s_add_co_ci_u32 s67, s61, 0
	s_delay_alu instid0(SALU_CYCLE_1) | instskip(NEXT) | instid1(SALU_CYCLE_1)
	s_add_nc_u64 s[66:67], s[2:3], s[66:67]
	s_add_co_u32 s0, s64, s66
	s_cselect_b32 s2, -1, 0
	v_mul_hi_u32 v30, v22, s0
	s_cmp_lg_u32 s2, 0
	s_add_co_ci_u32 s2, s65, s67
	s_and_b64 s[64:65], s[0:1], s[28:29]
	v_mul_u64_e32 v[24:25], s[2:3], v[22:23]
	v_mul_u64_e32 v[18:19], s[64:65], v[26:27]
	;; [unrolled: 1-line block ×3, first 2 shown]
	s_delay_alu instid0(VALU_DEP_3) | instskip(NEXT) | instid1(VALU_DEP_1)
	v_add_nc_u64_e32 v[24:25], v[30:31], v[24:25]
	v_add_co_u32 v3, vcc_lo, v24, v18
	s_delay_alu instid0(VALU_DEP_2) | instskip(NEXT) | instid1(VALU_DEP_4)
	v_add_co_ci_u32_e32 v30, vcc_lo, v25, v19, vcc_lo
	v_add_co_ci_u32_e32 v29, vcc_lo, 0, v29, vcc_lo
	s_delay_alu instid0(VALU_DEP_1) | instskip(NEXT) | instid1(VALU_DEP_1)
	v_add_nc_u64_e32 v[18:19], v[30:31], v[28:29]
	v_mul_u64_e32 v[24:25], s[62:63], v[18:19]
	s_delay_alu instid0(VALU_DEP_1) | instskip(NEXT) | instid1(VALU_DEP_2)
	v_sub_nc_u32_e32 v3, v26, v25
	v_sub_co_u32 v21, vcc_lo, v22, v24
	s_delay_alu instid0(VALU_DEP_1) | instskip(NEXT) | instid1(VALU_DEP_3)
	v_sub_co_ci_u32_e64 v26, null, v26, v25, vcc_lo
	v_subrev_co_ci_u32_e64 v3, null, s63, v3, vcc_lo
	s_delay_alu instid0(VALU_DEP_3) | instskip(SKIP_1) | instid1(VALU_DEP_3)
	v_sub_co_u32 v22, s0, v21, s62
	v_add_nc_u64_e32 v[24:25], 1, v[18:19]
	v_subrev_co_ci_u32_e64 v3, null, 0, v3, s0
	s_delay_alu instid0(VALU_DEP_3) | instskip(SKIP_1) | instid1(VALU_DEP_3)
	v_cmp_le_u32_e32 vcc_lo, s62, v22
	v_cndmask_b32_e64 v22, 0, -1, vcc_lo
	v_cmp_le_u32_e32 vcc_lo, s63, v3
	v_cndmask_b32_e64 v23, 0, -1, vcc_lo
	;; [unrolled: 2-line block ×4, first 2 shown]
	v_cmp_eq_u32_e32 vcc_lo, s63, v3
	v_cndmask_b32_e32 v3, v23, v22, vcc_lo
	v_cmp_eq_u32_e32 vcc_lo, s63, v26
	v_add_nc_u64_e32 v[22:23], 2, v[18:19]
	v_cndmask_b32_e32 v21, v27, v21, vcc_lo
	s_delay_alu instid0(VALU_DEP_4) | instskip(NEXT) | instid1(VALU_DEP_3)
	v_cmp_ne_u32_e32 vcc_lo, 0, v3
	v_cndmask_b32_e32 v3, v25, v23, vcc_lo
	s_delay_alu instid0(VALU_DEP_3) | instskip(SKIP_1) | instid1(VALU_DEP_1)
	v_cmp_ne_u32_e64 s0, 0, v21
	v_dual_cndmask_b32 v21, v24, v22, vcc_lo :: v_dual_bitop2_b32 v20, s60, v20 bitop3:0x14
	v_dual_cndmask_b32 v3, v19, v3, s0 :: v_dual_cndmask_b32 v18, v18, v21, s0
	s_delay_alu instid0(VALU_DEP_1) | instskip(NEXT) | instid1(VALU_DEP_2)
	v_dual_mov_b32 v21, v20 :: v_dual_bitop2_b32 v19, v3, v20 bitop3:0x14
	v_xor_b32_e32 v18, v18, v20
	s_delay_alu instid0(VALU_DEP_1)
	v_sub_nc_u64_e32 v[22:23], v[18:19], v[20:21]
                                        ; implicit-def: $vgpr18_vgpr19
.LBB4_28:                               ;   in Loop: Header=BB4_4 Depth=1
	s_and_not1_saveexec_b32 s0, s1
	s_cbranch_execz .LBB4_30
; %bb.29:                               ;   in Loop: Header=BB4_4 Depth=1
	v_cvt_f32_u32_e32 v3, s42
	s_sub_co_i32 s1, 0, s42
	v_mov_b32_e32 v23, v2
	s_delay_alu instid0(VALU_DEP_2) | instskip(SKIP_1) | instid1(TRANS32_DEP_1)
	v_rcp_iflag_f32_e32 v3, v3
	v_nop
	v_mul_f32_e32 v3, 0x4f7ffffe, v3
	s_delay_alu instid0(VALU_DEP_1) | instskip(NEXT) | instid1(VALU_DEP_1)
	v_cvt_u32_f32_e32 v3, v3
	v_mul_lo_u32 v19, s1, v3
	s_delay_alu instid0(VALU_DEP_1) | instskip(NEXT) | instid1(VALU_DEP_1)
	v_mul_hi_u32 v19, v3, v19
	v_add_nc_u32_e32 v3, v3, v19
	s_delay_alu instid0(VALU_DEP_1) | instskip(NEXT) | instid1(VALU_DEP_1)
	v_mul_hi_u32 v3, v18, v3
	v_mul_lo_u32 v19, v3, s42
	s_delay_alu instid0(VALU_DEP_1) | instskip(SKIP_1) | instid1(VALU_DEP_2)
	v_sub_nc_u32_e32 v18, v18, v19
	v_add_nc_u32_e32 v19, 1, v3
	v_subrev_nc_u32_e32 v20, s42, v18
	v_cmp_le_u32_e32 vcc_lo, s42, v18
	s_delay_alu instid0(VALU_DEP_2) | instskip(NEXT) | instid1(VALU_DEP_1)
	v_dual_cndmask_b32 v18, v18, v20 :: v_dual_cndmask_b32 v3, v3, v19
	v_cmp_le_u32_e32 vcc_lo, s42, v18
	s_delay_alu instid0(VALU_DEP_2) | instskip(NEXT) | instid1(VALU_DEP_1)
	v_add_nc_u32_e32 v19, 1, v3
	v_cndmask_b32_e32 v22, v3, v19, vcc_lo
.LBB4_30:                               ;   in Loop: Header=BB4_4 Depth=1
	s_or_b32 exec_lo, exec_lo, s0
	v_add_nc_u64_e32 v[12:13], s[36:37], v[12:13]
	v_mov_b64_e32 v[18:19], 0
	s_mov_b32 s1, exec_lo
	s_delay_alu instid0(VALU_DEP_2)
	v_cmpx_lt_i64_e64 s[52:53], v[12:13]
	s_cbranch_execz .LBB4_36
; %bb.31:                               ;   in Loop: Header=BB4_4 Depth=1
	v_add_nc_u64_e32 v[18:19], s[56:57], v[12:13]
                                        ; implicit-def: $vgpr20_vgpr21
	s_mov_b32 s0, exec_lo
	s_delay_alu instid0(VALU_DEP_1) | instskip(NEXT) | instid1(VALU_DEP_1)
	v_or_b32_e32 v3, s41, v19
	v_cmpx_ne_u64_e32 0, v[2:3]
	s_xor_b32 s31, exec_lo, s0
	s_cbranch_execz .LBB4_33
; %bb.32:                               ;   in Loop: Header=BB4_4 Depth=1
	s_ashr_i32 s60, s41, 31
	v_dual_mov_b32 v25, v2 :: v_dual_ashrrev_i32 v20, 31, v19
	s_mov_b32 s61, s60
	s_delay_alu instid0(SALU_CYCLE_1) | instskip(NEXT) | instid1(VALU_DEP_1)
	s_add_nc_u64 s[62:63], s[40:41], s[60:61]
	v_mov_b32_e32 v21, v20
	s_xor_b64 s[62:63], s[62:63], s[60:61]
	s_delay_alu instid0(SALU_CYCLE_1)
	s_cvt_f32_u32 s0, s62
	s_cvt_f32_u32 s2, s63
	s_sub_nc_u64 s[66:67], 0, s[62:63]
	v_add_nc_u64_e32 v[18:19], v[18:19], v[20:21]
	v_mov_b32_e32 v29, v2
	s_fmamk_f32 s0, s2, 0x4f800000, s0
	s_delay_alu instid0(SALU_CYCLE_3) | instskip(NEXT) | instid1(VALU_DEP_2)
	v_s_rcp_f32 s0, s0
	v_xor_b32_e32 v24, v18, v20
	s_delay_alu instid0(VALU_DEP_3) | instskip(SKIP_1) | instid1(TRANS32_DEP_1)
	v_dual_mov_b32 v33, v2 :: v_dual_bitop2_b32 v28, v19, v20 bitop3:0x14
	v_xor_b32_e32 v20, s60, v20
	s_mul_f32 s0, s0, 0x5f7ffffc
	s_delay_alu instid0(SALU_CYCLE_3) | instskip(NEXT) | instid1(SALU_CYCLE_3)
	s_mul_f32 s2, s0, 0x2f800000
	s_trunc_f32 s2, s2
	s_delay_alu instid0(SALU_CYCLE_3) | instskip(SKIP_1) | instid1(SALU_CYCLE_2)
	s_fmamk_f32 s0, s2, 0xcf800000, s0
	s_cvt_u32_f32 s65, s2
	s_cvt_u32_f32 s64, s0
	s_delay_alu instid0(SALU_CYCLE_3) | instskip(NEXT) | instid1(SALU_CYCLE_1)
	s_mul_u64 s[68:69], s[66:67], s[64:65]
	s_mul_hi_u32 s71, s64, s69
	s_mul_i32 s70, s64, s69
	s_mul_hi_u32 s2, s64, s68
	s_mul_i32 s61, s65, s68
	s_add_nc_u64 s[70:71], s[2:3], s[70:71]
	s_mul_hi_u32 s0, s65, s68
	s_mul_hi_u32 s72, s65, s69
	s_add_co_u32 s2, s70, s61
	s_add_co_ci_u32 s2, s71, s0
	s_mul_i32 s68, s65, s69
	s_add_co_ci_u32 s69, s72, 0
	s_delay_alu instid0(SALU_CYCLE_1) | instskip(NEXT) | instid1(SALU_CYCLE_1)
	s_add_nc_u64 s[68:69], s[2:3], s[68:69]
	s_add_co_u32 s64, s64, s68
	s_cselect_b32 s0, -1, 0
	s_delay_alu instid0(SALU_CYCLE_1) | instskip(SKIP_1) | instid1(SALU_CYCLE_1)
	s_cmp_lg_u32 s0, 0
	s_add_co_ci_u32 s65, s65, s69
	s_mul_u64 s[66:67], s[66:67], s[64:65]
	s_delay_alu instid0(SALU_CYCLE_1)
	s_mul_hi_u32 s69, s64, s67
	s_mul_i32 s68, s64, s67
	s_mul_hi_u32 s2, s64, s66
	s_mul_i32 s61, s65, s66
	s_add_nc_u64 s[68:69], s[2:3], s[68:69]
	s_mul_hi_u32 s0, s65, s66
	s_mul_hi_u32 s70, s65, s67
	s_add_co_u32 s2, s68, s61
	s_add_co_ci_u32 s2, s69, s0
	s_mul_i32 s66, s65, s67
	s_add_co_ci_u32 s67, s70, 0
	s_delay_alu instid0(SALU_CYCLE_1) | instskip(NEXT) | instid1(SALU_CYCLE_1)
	s_add_nc_u64 s[66:67], s[2:3], s[66:67]
	s_add_co_u32 s0, s64, s66
	s_cselect_b32 s2, -1, 0
	v_mul_hi_u32 v32, v24, s0
	s_cmp_lg_u32 s2, 0
	s_add_co_ci_u32 s2, s65, s67
	s_and_b64 s[64:65], s[0:1], s[28:29]
	v_mul_u64_e32 v[26:27], s[2:3], v[24:25]
	v_mul_u64_e32 v[18:19], s[64:65], v[28:29]
	;; [unrolled: 1-line block ×3, first 2 shown]
	s_delay_alu instid0(VALU_DEP_3) | instskip(NEXT) | instid1(VALU_DEP_1)
	v_add_nc_u64_e32 v[26:27], v[32:33], v[26:27]
	v_add_co_u32 v3, vcc_lo, v26, v18
	s_delay_alu instid0(VALU_DEP_2) | instskip(NEXT) | instid1(VALU_DEP_4)
	v_add_co_ci_u32_e32 v32, vcc_lo, v27, v19, vcc_lo
	v_add_co_ci_u32_e32 v31, vcc_lo, 0, v31, vcc_lo
	s_delay_alu instid0(VALU_DEP_1) | instskip(NEXT) | instid1(VALU_DEP_1)
	v_add_nc_u64_e32 v[18:19], v[32:33], v[30:31]
	v_mul_u64_e32 v[26:27], s[62:63], v[18:19]
	s_delay_alu instid0(VALU_DEP_1) | instskip(NEXT) | instid1(VALU_DEP_2)
	v_sub_nc_u32_e32 v3, v28, v27
	v_sub_co_u32 v21, vcc_lo, v24, v26
	s_delay_alu instid0(VALU_DEP_1) | instskip(NEXT) | instid1(VALU_DEP_3)
	v_sub_co_ci_u32_e64 v28, null, v28, v27, vcc_lo
	v_subrev_co_ci_u32_e64 v3, null, s63, v3, vcc_lo
	s_delay_alu instid0(VALU_DEP_3) | instskip(SKIP_1) | instid1(VALU_DEP_3)
	v_sub_co_u32 v24, s0, v21, s62
	v_add_nc_u64_e32 v[26:27], 1, v[18:19]
	v_subrev_co_ci_u32_e64 v3, null, 0, v3, s0
	s_delay_alu instid0(VALU_DEP_3) | instskip(SKIP_1) | instid1(VALU_DEP_3)
	v_cmp_le_u32_e32 vcc_lo, s62, v24
	v_cndmask_b32_e64 v24, 0, -1, vcc_lo
	v_cmp_le_u32_e32 vcc_lo, s63, v3
	v_cndmask_b32_e64 v25, 0, -1, vcc_lo
	;; [unrolled: 2-line block ×4, first 2 shown]
	v_cmp_eq_u32_e32 vcc_lo, s63, v3
	v_cndmask_b32_e32 v3, v25, v24, vcc_lo
	v_cmp_eq_u32_e32 vcc_lo, s63, v28
	v_add_nc_u64_e32 v[24:25], 2, v[18:19]
	v_cndmask_b32_e32 v21, v29, v21, vcc_lo
	s_delay_alu instid0(VALU_DEP_4) | instskip(NEXT) | instid1(VALU_DEP_2)
	v_cmp_ne_u32_e32 vcc_lo, 0, v3
	v_cmp_ne_u32_e64 s0, 0, v21
	s_delay_alu instid0(VALU_DEP_4) | instskip(NEXT) | instid1(VALU_DEP_1)
	v_dual_cndmask_b32 v3, v27, v25, vcc_lo :: v_dual_cndmask_b32 v21, v26, v24, vcc_lo
	v_dual_cndmask_b32 v18, v18, v21, s0 :: v_dual_mov_b32 v21, v20
	s_delay_alu instid0(VALU_DEP_1) | instskip(NEXT) | instid1(VALU_DEP_1)
	v_dual_cndmask_b32 v3, v19, v3, s0 :: v_dual_bitop2_b32 v18, v18, v20 bitop3:0x14
	v_xor_b32_e32 v19, v3, v20
	s_delay_alu instid0(VALU_DEP_1)
	v_sub_nc_u64_e32 v[20:21], v[18:19], v[20:21]
                                        ; implicit-def: $vgpr18_vgpr19
.LBB4_33:                               ;   in Loop: Header=BB4_4 Depth=1
	s_and_not1_saveexec_b32 s0, s31
	s_cbranch_execz .LBB4_35
; %bb.34:                               ;   in Loop: Header=BB4_4 Depth=1
	v_cvt_f32_u32_e32 v3, s40
	s_sub_co_i32 s2, 0, s40
	v_mov_b32_e32 v21, v2
	s_delay_alu instid0(VALU_DEP_2) | instskip(SKIP_1) | instid1(TRANS32_DEP_1)
	v_rcp_iflag_f32_e32 v3, v3
	v_nop
	v_mul_f32_e32 v3, 0x4f7ffffe, v3
	s_delay_alu instid0(VALU_DEP_1) | instskip(NEXT) | instid1(VALU_DEP_1)
	v_cvt_u32_f32_e32 v3, v3
	v_mul_lo_u32 v19, s2, v3
	s_delay_alu instid0(VALU_DEP_1) | instskip(NEXT) | instid1(VALU_DEP_1)
	v_mul_hi_u32 v19, v3, v19
	v_add_nc_u32_e32 v3, v3, v19
	s_delay_alu instid0(VALU_DEP_1) | instskip(NEXT) | instid1(VALU_DEP_1)
	v_mul_hi_u32 v3, v18, v3
	v_mul_lo_u32 v19, v3, s40
	s_delay_alu instid0(VALU_DEP_1) | instskip(SKIP_1) | instid1(VALU_DEP_2)
	v_sub_nc_u32_e32 v18, v18, v19
	v_add_nc_u32_e32 v19, 1, v3
	v_subrev_nc_u32_e32 v20, s40, v18
	v_cmp_le_u32_e32 vcc_lo, s40, v18
	s_delay_alu instid0(VALU_DEP_2) | instskip(NEXT) | instid1(VALU_DEP_1)
	v_dual_cndmask_b32 v18, v18, v20 :: v_dual_cndmask_b32 v3, v3, v19
	v_cmp_le_u32_e32 vcc_lo, s40, v18
	s_delay_alu instid0(VALU_DEP_2) | instskip(NEXT) | instid1(VALU_DEP_1)
	v_add_nc_u32_e32 v19, 1, v3
	v_cndmask_b32_e32 v20, v3, v19, vcc_lo
.LBB4_35:                               ;   in Loop: Header=BB4_4 Depth=1
	s_or_b32 exec_lo, exec_lo, s0
	s_delay_alu instid0(VALU_DEP_1)
	v_add_nc_u64_e32 v[18:19], 1, v[20:21]
.LBB4_36:                               ;   in Loop: Header=BB4_4 Depth=1
	s_or_b32 exec_lo, exec_lo, s1
	v_or_b32_e32 v3, s41, v13
                                        ; implicit-def: $vgpr20_vgpr21
	s_mov_b32 s0, exec_lo
	s_delay_alu instid0(VALU_DEP_1)
	v_cmpx_ne_u64_e32 0, v[2:3]
	s_xor_b32 s1, exec_lo, s0
	s_cbranch_execz .LBB4_38
; %bb.37:                               ;   in Loop: Header=BB4_4 Depth=1
	s_ashr_i32 s60, s41, 31
	v_dual_mov_b32 v27, v2 :: v_dual_ashrrev_i32 v20, 31, v13
	s_mov_b32 s61, s60
	v_mov_b32_e32 v31, v2
	s_add_nc_u64 s[62:63], s[40:41], s[60:61]
	s_delay_alu instid0(VALU_DEP_2)
	v_mov_b32_e32 v21, v20
	s_xor_b64 s[62:63], s[62:63], s[60:61]
	v_mov_b32_e32 v37, v2
	s_cvt_f32_u32 s0, s62
	s_cvt_f32_u32 s2, s63
	s_sub_nc_u64 s[66:67], 0, s[62:63]
	v_add_nc_u64_e32 v[24:25], v[12:13], v[20:21]
	s_delay_alu instid0(SALU_CYCLE_1) | instskip(NEXT) | instid1(SALU_CYCLE_3)
	s_fmamk_f32 s0, s2, 0x4f800000, s0
	v_s_rcp_f32 s0, s0
	s_delay_alu instid0(VALU_DEP_1) | instskip(NEXT) | instid1(VALU_DEP_2)
	v_xor_b32_e32 v26, v24, v20
	v_xor_b32_e32 v30, v25, v20
	s_delay_alu instid0(TRANS32_DEP_1) | instskip(NEXT) | instid1(SALU_CYCLE_3)
	s_mul_f32 s0, s0, 0x5f7ffffc
	s_mul_f32 s2, s0, 0x2f800000
	s_delay_alu instid0(SALU_CYCLE_3) | instskip(NEXT) | instid1(SALU_CYCLE_3)
	s_trunc_f32 s2, s2
	s_fmamk_f32 s0, s2, 0xcf800000, s0
	s_cvt_u32_f32 s65, s2
	s_delay_alu instid0(SALU_CYCLE_2) | instskip(NEXT) | instid1(SALU_CYCLE_3)
	s_cvt_u32_f32 s64, s0
	s_mul_u64 s[68:69], s[66:67], s[64:65]
	s_delay_alu instid0(SALU_CYCLE_1)
	s_mul_hi_u32 s71, s64, s69
	s_mul_i32 s70, s64, s69
	s_mul_hi_u32 s2, s64, s68
	s_mul_i32 s31, s65, s68
	s_add_nc_u64 s[70:71], s[2:3], s[70:71]
	s_mul_hi_u32 s0, s65, s68
	s_mul_hi_u32 s61, s65, s69
	s_add_co_u32 s2, s70, s31
	s_add_co_ci_u32 s2, s71, s0
	s_mul_i32 s68, s65, s69
	s_add_co_ci_u32 s69, s61, 0
	s_delay_alu instid0(SALU_CYCLE_1) | instskip(NEXT) | instid1(SALU_CYCLE_1)
	s_add_nc_u64 s[68:69], s[2:3], s[68:69]
	s_add_co_u32 s64, s64, s68
	s_cselect_b32 s0, -1, 0
	s_delay_alu instid0(SALU_CYCLE_1) | instskip(SKIP_1) | instid1(SALU_CYCLE_1)
	s_cmp_lg_u32 s0, 0
	s_add_co_ci_u32 s65, s65, s69
	s_mul_u64 s[66:67], s[66:67], s[64:65]
	s_delay_alu instid0(SALU_CYCLE_1)
	s_mul_hi_u32 s69, s64, s67
	s_mul_i32 s68, s64, s67
	s_mul_hi_u32 s2, s64, s66
	s_mul_i32 s31, s65, s66
	s_add_nc_u64 s[68:69], s[2:3], s[68:69]
	s_mul_hi_u32 s0, s65, s66
	s_mul_hi_u32 s61, s65, s67
	s_add_co_u32 s2, s68, s31
	s_add_co_ci_u32 s2, s69, s0
	s_mul_i32 s66, s65, s67
	s_add_co_ci_u32 s67, s61, 0
	s_delay_alu instid0(SALU_CYCLE_1) | instskip(NEXT) | instid1(SALU_CYCLE_1)
	s_add_nc_u64 s[66:67], s[2:3], s[66:67]
	s_add_co_u32 s0, s64, s66
	s_cselect_b32 s2, -1, 0
	v_mul_hi_u32 v36, v26, s0
	s_cmp_lg_u32 s2, 0
	s_add_co_ci_u32 s2, s65, s67
	s_and_b64 s[64:65], s[0:1], s[28:29]
	v_mul_u64_e32 v[28:29], s[2:3], v[26:27]
	v_mul_u64_e32 v[24:25], s[64:65], v[30:31]
	;; [unrolled: 1-line block ×3, first 2 shown]
	s_delay_alu instid0(VALU_DEP_3) | instskip(NEXT) | instid1(VALU_DEP_1)
	v_add_nc_u64_e32 v[28:29], v[36:37], v[28:29]
	v_add_co_u32 v3, vcc_lo, v28, v24
	s_delay_alu instid0(VALU_DEP_2) | instskip(NEXT) | instid1(VALU_DEP_4)
	v_add_co_ci_u32_e32 v36, vcc_lo, v29, v25, vcc_lo
	v_add_co_ci_u32_e32 v33, vcc_lo, 0, v33, vcc_lo
	s_delay_alu instid0(VALU_DEP_1) | instskip(NEXT) | instid1(VALU_DEP_1)
	v_add_nc_u64_e32 v[24:25], v[36:37], v[32:33]
	v_mul_u64_e32 v[28:29], s[62:63], v[24:25]
	s_delay_alu instid0(VALU_DEP_1) | instskip(NEXT) | instid1(VALU_DEP_2)
	v_sub_nc_u32_e32 v3, v30, v29
	v_sub_co_u32 v21, vcc_lo, v26, v28
	s_delay_alu instid0(VALU_DEP_1) | instskip(NEXT) | instid1(VALU_DEP_3)
	v_sub_co_ci_u32_e64 v30, null, v30, v29, vcc_lo
	v_subrev_co_ci_u32_e64 v3, null, s63, v3, vcc_lo
	s_delay_alu instid0(VALU_DEP_3) | instskip(SKIP_1) | instid1(VALU_DEP_3)
	v_sub_co_u32 v26, s0, v21, s62
	v_add_nc_u64_e32 v[28:29], 1, v[24:25]
	v_subrev_co_ci_u32_e64 v3, null, 0, v3, s0
	s_delay_alu instid0(VALU_DEP_3) | instskip(SKIP_1) | instid1(VALU_DEP_3)
	v_cmp_le_u32_e32 vcc_lo, s62, v26
	v_cndmask_b32_e64 v26, 0, -1, vcc_lo
	v_cmp_le_u32_e32 vcc_lo, s63, v3
	v_cndmask_b32_e64 v27, 0, -1, vcc_lo
	;; [unrolled: 2-line block ×4, first 2 shown]
	v_cmp_eq_u32_e32 vcc_lo, s63, v3
	v_cndmask_b32_e32 v3, v27, v26, vcc_lo
	v_cmp_eq_u32_e32 vcc_lo, s63, v30
	v_add_nc_u64_e32 v[26:27], 2, v[24:25]
	v_cndmask_b32_e32 v21, v31, v21, vcc_lo
	s_delay_alu instid0(VALU_DEP_4) | instskip(NEXT) | instid1(VALU_DEP_3)
	v_cmp_ne_u32_e32 vcc_lo, 0, v3
	v_cndmask_b32_e32 v3, v29, v27, vcc_lo
	s_delay_alu instid0(VALU_DEP_3) | instskip(SKIP_1) | instid1(VALU_DEP_1)
	v_cmp_ne_u32_e64 s0, 0, v21
	v_dual_cndmask_b32 v21, v28, v26, vcc_lo :: v_dual_bitop2_b32 v20, s60, v20 bitop3:0x14
	v_dual_cndmask_b32 v3, v25, v3, s0 :: v_dual_cndmask_b32 v24, v24, v21, s0
	s_delay_alu instid0(VALU_DEP_1) | instskip(NEXT) | instid1(VALU_DEP_2)
	v_dual_mov_b32 v21, v20 :: v_dual_bitop2_b32 v25, v3, v20 bitop3:0x14
	v_xor_b32_e32 v24, v24, v20
	s_delay_alu instid0(VALU_DEP_1)
	v_sub_nc_u64_e32 v[20:21], v[24:25], v[20:21]
.LBB4_38:                               ;   in Loop: Header=BB4_4 Depth=1
	s_and_not1_saveexec_b32 s0, s1
	s_cbranch_execz .LBB4_40
; %bb.39:                               ;   in Loop: Header=BB4_4 Depth=1
	v_cvt_f32_u32_e32 v3, s40
	s_sub_co_i32 s1, 0, s40
	s_delay_alu instid0(VALU_DEP_1) | instskip(SKIP_1) | instid1(TRANS32_DEP_1)
	v_rcp_iflag_f32_e32 v3, v3
	v_nop
	v_mul_f32_e32 v3, 0x4f7ffffe, v3
	s_delay_alu instid0(VALU_DEP_1) | instskip(NEXT) | instid1(VALU_DEP_1)
	v_cvt_u32_f32_e32 v3, v3
	v_mul_lo_u32 v20, s1, v3
	s_delay_alu instid0(VALU_DEP_1) | instskip(NEXT) | instid1(VALU_DEP_1)
	v_mul_hi_u32 v20, v3, v20
	v_add_nc_u32_e32 v3, v3, v20
	s_delay_alu instid0(VALU_DEP_1) | instskip(NEXT) | instid1(VALU_DEP_1)
	v_mul_hi_u32 v3, v12, v3
	v_mul_lo_u32 v20, v3, s40
	s_delay_alu instid0(VALU_DEP_1) | instskip(NEXT) | instid1(VALU_DEP_1)
	v_sub_nc_u32_e32 v20, v12, v20
	v_subrev_nc_u32_e32 v24, s40, v20
	v_cmp_le_u32_e32 vcc_lo, s40, v20
	s_delay_alu instid0(VALU_DEP_2) | instskip(NEXT) | instid1(VALU_DEP_1)
	v_dual_cndmask_b32 v20, v20, v24 :: v_dual_add_nc_u32 v21, 1, v3
	v_cndmask_b32_e32 v3, v3, v21, vcc_lo
	s_delay_alu instid0(VALU_DEP_2) | instskip(NEXT) | instid1(VALU_DEP_2)
	v_cmp_le_u32_e32 vcc_lo, s40, v20
	v_add_nc_u32_e32 v21, 1, v3
	s_delay_alu instid0(VALU_DEP_1)
	v_dual_cndmask_b32 v20, v3, v21 :: v_dual_mov_b32 v21, v2
.LBB4_40:                               ;   in Loop: Header=BB4_4 Depth=1
	s_or_b32 exec_lo, exec_lo, s0
	s_delay_alu instid0(VALU_DEP_1) | instskip(SKIP_2) | instid1(VALU_DEP_2)
	v_add_nc_u64_e32 v[20:21], 1, v[20:21]
	v_mov_b32_e32 v3, 0
	s_mov_b32 s31, exec_lo
	v_min_i64 v[20:21], v[20:21], s[48:49]
	s_delay_alu instid0(VALU_DEP_1)
	v_cmpx_lt_i64_e64 v[18:19], v[20:21]
	s_cbranch_execz .LBB4_3
; %bb.41:                               ;   in Loop: Header=BB4_4 Depth=1
	v_mul_u64_e32 v[24:25], s[42:43], v[10:11]
	v_lshlrev_b64_e32 v[26:27], 1, v[10:11]
	v_add_nc_u64_e32 v[22:23], 1, v[22:23]
	v_mul_u64_e32 v[14:15], s[16:17], v[14:15]
	v_add_nc_u64_e32 v[28:29], s[38:39], v[0:1]
	v_mov_b32_e32 v35, 0
	s_mov_b32 s64, 0
	v_mad_nc_u64_u32 v[26:27], s8, v4, v[26:27]
	v_min_i64 v[22:23], v[22:23], s[50:51]
	s_delay_alu instid0(VALU_DEP_2) | instskip(NEXT) | instid1(VALU_DEP_1)
	v_mad_u32 v3, s9, v4, v27
	v_mad_u32 v27, s8, v5, v3
	v_sub_nc_u64_e32 v[24:25], v[28:29], v[24:25]
	s_delay_alu instid0(VALU_DEP_1) | instskip(SKIP_1) | instid1(VALU_DEP_4)
	v_sub_nc_u64_e32 v[24:25], v[24:25], v[16:17]
	v_cmp_lt_i64_e64 s0, v[10:11], v[22:23]
	v_add_nc_u64_e32 v[16:17], s[6:7], v[26:27]
	s_delay_alu instid0(VALU_DEP_3)
	v_sub_nc_u64_e32 v[8:9], v[24:25], v[8:9]
	s_branch .LBB4_44
.LBB4_42:                               ;   in Loop: Header=BB4_44 Depth=2
	s_or_b32 exec_lo, exec_lo, s66
.LBB4_43:                               ;   in Loop: Header=BB4_44 Depth=2
	s_delay_alu instid0(SALU_CYCLE_1) | instskip(SKIP_1) | instid1(VALU_DEP_1)
	s_or_b32 exec_lo, exec_lo, s65
	v_add_nc_u64_e32 v[18:19], 1, v[18:19]
	v_cmp_ge_i64_e32 vcc_lo, v[18:19], v[20:21]
	s_or_b32 s64, vcc_lo, s64
	s_delay_alu instid0(SALU_CYCLE_1)
	s_and_not1_b32 exec_lo, exec_lo, s64
	s_cbranch_execz .LBB4_2
.LBB4_44:                               ;   Parent Loop BB4_4 Depth=1
                                        ; =>  This Loop Header: Depth=2
                                        ;       Child Loop BB4_52 Depth 3
	s_delay_alu instid0(VALU_DEP_3)
	s_and_saveexec_b32 s65, s0
	s_cbranch_execz .LBB4_43
; %bb.45:                               ;   in Loop: Header=BB4_44 Depth=2
	v_mul_u64_e32 v[24:25], s[40:41], v[18:19]
	s_mov_b32 s1, exec_lo
	s_delay_alu instid0(VALU_DEP_1) | instskip(NEXT) | instid1(VALU_DEP_1)
	v_sub_nc_u64_e32 v[26:27], v[12:13], v[24:25]
                                        ; implicit-def: $vgpr24_vgpr25
	v_or_b32_e32 v3, s45, v27
	s_delay_alu instid0(VALU_DEP_1)
	v_cmpx_ne_u64_e32 0, v[2:3]
	s_xor_b32 s66, exec_lo, s1
	s_cbranch_execz .LBB4_47
; %bb.46:                               ;   in Loop: Header=BB4_44 Depth=2
	s_ashr_i32 s60, s45, 31
	v_dual_mov_b32 v31, v2 :: v_dual_ashrrev_i32 v24, 31, v27
	s_mov_b32 s61, s60
	v_mov_b32_e32 v37, v2
	s_add_nc_u64 s[62:63], s[44:45], s[60:61]
	s_delay_alu instid0(VALU_DEP_2)
	v_mov_b32_e32 v25, v24
	s_xor_b64 s[62:63], s[62:63], s[60:61]
	v_mov_b32_e32 v41, v2
	s_cvt_f32_u32 s1, s62
	s_cvt_f32_u32 s2, s63
	s_sub_nc_u64 s[70:71], 0, s[62:63]
	v_add_nc_u64_e32 v[28:29], v[26:27], v[24:25]
	s_delay_alu instid0(SALU_CYCLE_1) | instskip(NEXT) | instid1(SALU_CYCLE_3)
	s_fmamk_f32 s1, s2, 0x4f800000, s1
	v_s_rcp_f32 s1, s1
	s_delay_alu instid0(VALU_DEP_1) | instskip(NEXT) | instid1(VALU_DEP_2)
	v_xor_b32_e32 v30, v28, v24
	v_xor_b32_e32 v36, v29, v24
	;; [unrolled: 1-line block ×3, first 2 shown]
	s_delay_alu instid0(TRANS32_DEP_1) | instskip(NEXT) | instid1(SALU_CYCLE_3)
	s_mul_f32 s1, s1, 0x5f7ffffc
	s_mul_f32 s2, s1, 0x2f800000
	s_delay_alu instid0(SALU_CYCLE_3) | instskip(NEXT) | instid1(SALU_CYCLE_3)
	s_trunc_f32 s2, s2
	s_fmamk_f32 s1, s2, 0xcf800000, s1
	s_cvt_u32_f32 s69, s2
	s_delay_alu instid0(SALU_CYCLE_2) | instskip(NEXT) | instid1(SALU_CYCLE_3)
	s_cvt_u32_f32 s68, s1
	s_mul_u64 s[72:73], s[70:71], s[68:69]
	s_delay_alu instid0(SALU_CYCLE_1)
	s_mul_hi_u32 s75, s68, s73
	s_mul_i32 s74, s68, s73
	s_mul_hi_u32 s2, s68, s72
	s_mul_i32 s61, s69, s72
	s_add_nc_u64 s[74:75], s[2:3], s[74:75]
	s_mul_hi_u32 s1, s69, s72
	s_mul_hi_u32 s67, s69, s73
	s_add_co_u32 s2, s74, s61
	s_add_co_ci_u32 s2, s75, s1
	s_mul_i32 s72, s69, s73
	s_add_co_ci_u32 s73, s67, 0
	s_delay_alu instid0(SALU_CYCLE_1) | instskip(NEXT) | instid1(SALU_CYCLE_1)
	s_add_nc_u64 s[72:73], s[2:3], s[72:73]
	s_add_co_u32 s68, s68, s72
	s_cselect_b32 s1, -1, 0
	s_delay_alu instid0(SALU_CYCLE_1) | instskip(SKIP_1) | instid1(SALU_CYCLE_1)
	s_cmp_lg_u32 s1, 0
	s_add_co_ci_u32 s69, s69, s73
	s_mul_u64 s[70:71], s[70:71], s[68:69]
	s_delay_alu instid0(SALU_CYCLE_1)
	s_mul_hi_u32 s73, s68, s71
	s_mul_i32 s72, s68, s71
	s_mul_hi_u32 s2, s68, s70
	s_mul_i32 s61, s69, s70
	s_add_nc_u64 s[72:73], s[2:3], s[72:73]
	s_mul_hi_u32 s1, s69, s70
	s_mul_hi_u32 s67, s69, s71
	s_add_co_u32 s2, s72, s61
	s_add_co_ci_u32 s2, s73, s1
	s_mul_i32 s70, s69, s71
	s_add_co_ci_u32 s71, s67, 0
	s_delay_alu instid0(SALU_CYCLE_1) | instskip(NEXT) | instid1(SALU_CYCLE_1)
	s_add_nc_u64 s[70:71], s[2:3], s[70:71]
	s_add_co_u32 s68, s68, s70
	s_cselect_b32 s1, -1, 0
	v_mul_hi_u32 v40, v30, s68
	s_cmp_lg_u32 s1, 0
	s_add_co_ci_u32 s2, s69, s71
	s_and_b64 s[70:71], s[68:69], s[28:29]
	v_mul_u64_e32 v[32:33], s[2:3], v[30:31]
	v_mul_u64_e32 v[28:29], s[70:71], v[36:37]
	;; [unrolled: 1-line block ×3, first 2 shown]
	s_delay_alu instid0(VALU_DEP_3) | instskip(NEXT) | instid1(VALU_DEP_1)
	v_add_nc_u64_e32 v[32:33], v[40:41], v[32:33]
	v_add_co_u32 v3, vcc_lo, v32, v28
	s_delay_alu instid0(VALU_DEP_2) | instskip(NEXT) | instid1(VALU_DEP_4)
	v_add_co_ci_u32_e32 v40, vcc_lo, v33, v29, vcc_lo
	v_add_co_ci_u32_e32 v39, vcc_lo, 0, v39, vcc_lo
	s_delay_alu instid0(VALU_DEP_1) | instskip(NEXT) | instid1(VALU_DEP_1)
	v_add_nc_u64_e32 v[28:29], v[40:41], v[38:39]
	v_mul_u64_e32 v[32:33], s[62:63], v[28:29]
	s_delay_alu instid0(VALU_DEP_1) | instskip(NEXT) | instid1(VALU_DEP_2)
	v_sub_nc_u32_e32 v3, v36, v33
	v_sub_co_u32 v25, vcc_lo, v30, v32
	s_delay_alu instid0(VALU_DEP_1) | instskip(NEXT) | instid1(VALU_DEP_3)
	v_sub_co_ci_u32_e64 v36, null, v36, v33, vcc_lo
	v_subrev_co_ci_u32_e64 v3, null, s63, v3, vcc_lo
	s_delay_alu instid0(VALU_DEP_3) | instskip(SKIP_1) | instid1(VALU_DEP_3)
	v_sub_co_u32 v30, s1, v25, s62
	v_add_nc_u64_e32 v[32:33], 1, v[28:29]
	v_subrev_co_ci_u32_e64 v3, null, 0, v3, s1
	s_delay_alu instid0(VALU_DEP_3) | instskip(SKIP_1) | instid1(VALU_DEP_3)
	v_cmp_le_u32_e32 vcc_lo, s62, v30
	v_cndmask_b32_e64 v30, 0, -1, vcc_lo
	v_cmp_le_u32_e32 vcc_lo, s63, v3
	v_cndmask_b32_e64 v31, 0, -1, vcc_lo
	;; [unrolled: 2-line block ×4, first 2 shown]
	v_cmp_eq_u32_e32 vcc_lo, s63, v3
	v_cndmask_b32_e32 v3, v31, v30, vcc_lo
	v_cmp_eq_u32_e32 vcc_lo, s63, v36
	v_add_nc_u64_e32 v[30:31], 2, v[28:29]
	v_cndmask_b32_e32 v25, v37, v25, vcc_lo
	s_delay_alu instid0(VALU_DEP_4) | instskip(NEXT) | instid1(VALU_DEP_2)
	v_cmp_ne_u32_e32 vcc_lo, 0, v3
	v_cmp_ne_u32_e64 s1, 0, v25
	s_delay_alu instid0(VALU_DEP_4) | instskip(NEXT) | instid1(VALU_DEP_1)
	v_dual_cndmask_b32 v3, v33, v31, vcc_lo :: v_dual_cndmask_b32 v25, v32, v30, vcc_lo
	v_dual_cndmask_b32 v3, v29, v3, s1 :: v_dual_cndmask_b32 v28, v28, v25, s1
	s_delay_alu instid0(VALU_DEP_1) | instskip(NEXT) | instid1(VALU_DEP_2)
	v_dual_mov_b32 v25, v24 :: v_dual_bitop2_b32 v29, v3, v24 bitop3:0x14
	v_xor_b32_e32 v28, v28, v24
	s_delay_alu instid0(VALU_DEP_1)
	v_sub_nc_u64_e32 v[24:25], v[28:29], v[24:25]
.LBB4_47:                               ;   in Loop: Header=BB4_44 Depth=2
	s_and_not1_saveexec_b32 s1, s66
	s_cbranch_execz .LBB4_49
; %bb.48:                               ;   in Loop: Header=BB4_44 Depth=2
	v_cvt_f32_u32_e32 v3, s44
	s_sub_co_i32 s2, 0, s44
	s_delay_alu instid0(VALU_DEP_1) | instskip(SKIP_1) | instid1(TRANS32_DEP_1)
	v_rcp_iflag_f32_e32 v3, v3
	v_nop
	v_mul_f32_e32 v3, 0x4f7ffffe, v3
	s_delay_alu instid0(VALU_DEP_1) | instskip(NEXT) | instid1(VALU_DEP_1)
	v_cvt_u32_f32_e32 v3, v3
	v_mul_lo_u32 v24, s2, v3
	s_delay_alu instid0(VALU_DEP_1) | instskip(NEXT) | instid1(VALU_DEP_1)
	v_mul_hi_u32 v24, v3, v24
	v_add_nc_u32_e32 v3, v3, v24
	s_delay_alu instid0(VALU_DEP_1) | instskip(NEXT) | instid1(VALU_DEP_1)
	v_mul_hi_u32 v3, v26, v3
	v_mul_lo_u32 v24, v3, s44
	s_delay_alu instid0(VALU_DEP_1) | instskip(NEXT) | instid1(VALU_DEP_1)
	v_sub_nc_u32_e32 v24, v26, v24
	v_subrev_nc_u32_e32 v28, s44, v24
	v_cmp_le_u32_e32 vcc_lo, s44, v24
	s_delay_alu instid0(VALU_DEP_2) | instskip(NEXT) | instid1(VALU_DEP_1)
	v_dual_cndmask_b32 v24, v24, v28 :: v_dual_add_nc_u32 v25, 1, v3
	v_cndmask_b32_e32 v3, v3, v25, vcc_lo
	s_delay_alu instid0(VALU_DEP_2) | instskip(NEXT) | instid1(VALU_DEP_2)
	v_cmp_le_u32_e32 vcc_lo, s44, v24
	v_add_nc_u32_e32 v25, 1, v3
	s_delay_alu instid0(VALU_DEP_1)
	v_dual_cndmask_b32 v24, v3, v25 :: v_dual_mov_b32 v25, v2
.LBB4_49:                               ;   in Loop: Header=BB4_44 Depth=2
	s_or_b32 exec_lo, exec_lo, s1
	s_delay_alu instid0(VALU_DEP_1) | instskip(SKIP_3) | instid1(VALU_DEP_2)
	v_mul_u64_e32 v[28:29], s[44:45], v[24:25]
	v_add_nc_u64_e32 v[24:25], v[24:25], v[14:15]
	v_mov_b64_e32 v[30:31], v[10:11]
	s_mov_b32 s66, 0
	v_mul_u64_e32 v[24:25], s[18:19], v[24:25]
	s_delay_alu instid0(VALU_DEP_4) | instskip(SKIP_1) | instid1(VALU_DEP_2)
	v_sub_nc_u64_e32 v[26:27], v[26:27], v[28:29]
	v_mov_b64_e32 v[28:29], v[16:17]
	v_cmp_eq_u64_e64 s1, 0, v[26:27]
	v_mov_b64_e32 v[26:27], v[8:9]
	s_branch .LBB4_52
.LBB4_50:                               ;   in Loop: Header=BB4_52 Depth=3
	s_wait_xcnt 0x0
	s_or_b32 exec_lo, exec_lo, s2
.LBB4_51:                               ;   in Loop: Header=BB4_52 Depth=3
	s_delay_alu instid0(SALU_CYCLE_1) | instskip(SKIP_3) | instid1(VALU_DEP_3)
	s_or_b32 exec_lo, exec_lo, s67
	v_add_nc_u64_e32 v[30:31], 1, v[30:31]
	v_add_nc_u64_e32 v[28:29], 2, v[28:29]
	v_sub_nc_u64_e64 v[26:27], v[26:27], s[42:43]
	v_cmp_ge_i64_e32 vcc_lo, v[30:31], v[22:23]
	s_or_b32 s66, vcc_lo, s66
	s_delay_alu instid0(SALU_CYCLE_1)
	s_and_not1_b32 exec_lo, exec_lo, s66
	s_cbranch_execz .LBB4_42
.LBB4_52:                               ;   Parent Loop BB4_4 Depth=1
                                        ;     Parent Loop BB4_44 Depth=2
                                        ; =>    This Inner Loop Header: Depth=3
	s_delay_alu instid0(VALU_DEP_2)
	s_and_saveexec_b32 s67, s1
	s_cbranch_execz .LBB4_51
; %bb.53:                               ;   in Loop: Header=BB4_52 Depth=3
	s_delay_alu instid0(VALU_DEP_1) | instskip(SKIP_1) | instid1(VALU_DEP_1)
	v_or_b32_e32 v3, s47, v27
                                        ; implicit-def: $vgpr32_vgpr33
	s_mov_b32 s2, exec_lo
	v_cmpx_ne_u64_e32 0, v[2:3]
	s_xor_b32 s68, exec_lo, s2
	s_cbranch_execz .LBB4_55
; %bb.54:                               ;   in Loop: Header=BB4_52 Depth=3
	s_ashr_i32 s60, s47, 31
	v_dual_mov_b32 v39, v2 :: v_dual_ashrrev_i32 v32, 31, v27
	s_mov_b32 s61, s60
	v_mov_b32_e32 v43, v2
	s_add_nc_u64 s[62:63], s[46:47], s[60:61]
	s_delay_alu instid0(VALU_DEP_2)
	v_mov_b32_e32 v33, v32
	s_xor_b64 s[62:63], s[62:63], s[60:61]
	v_mov_b32_e32 v47, v2
	s_cvt_f32_u32 s2, s62
	s_cvt_f32_u32 s61, s63
	s_sub_nc_u64 s[72:73], 0, s[62:63]
	v_add_nc_u64_e32 v[36:37], v[26:27], v[32:33]
	s_delay_alu instid0(SALU_CYCLE_1) | instskip(NEXT) | instid1(SALU_CYCLE_3)
	s_fmamk_f32 s2, s61, 0x4f800000, s2
	v_s_rcp_f32 s2, s2
	s_delay_alu instid0(VALU_DEP_1) | instskip(NEXT) | instid1(VALU_DEP_2)
	v_xor_b32_e32 v38, v36, v32
	v_xor_b32_e32 v42, v37, v32
	s_delay_alu instid0(TRANS32_DEP_1) | instskip(NEXT) | instid1(SALU_CYCLE_3)
	s_mul_f32 s2, s2, 0x5f7ffffc
	s_mul_f32 s61, s2, 0x2f800000
	s_delay_alu instid0(SALU_CYCLE_3) | instskip(NEXT) | instid1(SALU_CYCLE_3)
	s_trunc_f32 s61, s61
	s_fmamk_f32 s2, s61, 0xcf800000, s2
	s_cvt_u32_f32 s71, s61
	s_delay_alu instid0(SALU_CYCLE_2) | instskip(NEXT) | instid1(SALU_CYCLE_3)
	s_cvt_u32_f32 s70, s2
	s_mul_u64 s[74:75], s[72:73], s[70:71]
	s_delay_alu instid0(SALU_CYCLE_1)
	s_mul_hi_u32 s77, s70, s75
	s_mul_i32 s76, s70, s75
	s_mul_hi_u32 s2, s70, s74
	s_mul_i32 s69, s71, s74
	s_add_nc_u64 s[76:77], s[2:3], s[76:77]
	s_mul_hi_u32 s61, s71, s74
	s_mul_hi_u32 s78, s71, s75
	s_add_co_u32 s2, s76, s69
	s_add_co_ci_u32 s2, s77, s61
	s_mul_i32 s74, s71, s75
	s_add_co_ci_u32 s75, s78, 0
	s_delay_alu instid0(SALU_CYCLE_1) | instskip(NEXT) | instid1(SALU_CYCLE_1)
	s_add_nc_u64 s[74:75], s[2:3], s[74:75]
	s_add_co_u32 s70, s70, s74
	s_cselect_b32 s2, -1, 0
	s_delay_alu instid0(SALU_CYCLE_1) | instskip(SKIP_1) | instid1(SALU_CYCLE_1)
	s_cmp_lg_u32 s2, 0
	s_add_co_ci_u32 s71, s71, s75
	s_mul_u64 s[72:73], s[72:73], s[70:71]
	s_delay_alu instid0(SALU_CYCLE_1)
	s_mul_hi_u32 s75, s70, s73
	s_mul_i32 s74, s70, s73
	s_mul_hi_u32 s2, s70, s72
	s_mul_i32 s69, s71, s72
	s_add_nc_u64 s[74:75], s[2:3], s[74:75]
	s_mul_hi_u32 s61, s71, s72
	s_mul_hi_u32 s76, s71, s73
	s_add_co_u32 s2, s74, s69
	s_add_co_ci_u32 s2, s75, s61
	s_mul_i32 s72, s71, s73
	s_add_co_ci_u32 s73, s76, 0
	s_delay_alu instid0(SALU_CYCLE_1) | instskip(NEXT) | instid1(SALU_CYCLE_1)
	s_add_nc_u64 s[72:73], s[2:3], s[72:73]
	s_add_co_u32 s70, s70, s72
	s_cselect_b32 s2, -1, 0
	v_mul_hi_u32 v46, v38, s70
	s_cmp_lg_u32 s2, 0
	s_add_co_ci_u32 s2, s71, s73
	s_and_b64 s[72:73], s[70:71], s[28:29]
	v_mul_u64_e32 v[40:41], s[2:3], v[38:39]
	v_mul_u64_e32 v[36:37], s[72:73], v[42:43]
	;; [unrolled: 1-line block ×3, first 2 shown]
	s_delay_alu instid0(VALU_DEP_3) | instskip(NEXT) | instid1(VALU_DEP_1)
	v_add_nc_u64_e32 v[40:41], v[46:47], v[40:41]
	v_add_co_u32 v3, vcc_lo, v40, v36
	s_delay_alu instid0(VALU_DEP_2) | instskip(NEXT) | instid1(VALU_DEP_4)
	v_add_co_ci_u32_e32 v46, vcc_lo, v41, v37, vcc_lo
	v_add_co_ci_u32_e32 v45, vcc_lo, 0, v45, vcc_lo
	s_delay_alu instid0(VALU_DEP_1) | instskip(NEXT) | instid1(VALU_DEP_1)
	v_add_nc_u64_e32 v[36:37], v[46:47], v[44:45]
	v_mul_u64_e32 v[40:41], s[62:63], v[36:37]
	s_delay_alu instid0(VALU_DEP_1) | instskip(NEXT) | instid1(VALU_DEP_2)
	v_sub_nc_u32_e32 v3, v42, v41
	v_sub_co_u32 v33, vcc_lo, v38, v40
	s_delay_alu instid0(VALU_DEP_1) | instskip(NEXT) | instid1(VALU_DEP_3)
	v_sub_co_ci_u32_e64 v42, null, v42, v41, vcc_lo
	v_subrev_co_ci_u32_e64 v3, null, s63, v3, vcc_lo
	s_delay_alu instid0(VALU_DEP_3) | instskip(SKIP_1) | instid1(VALU_DEP_3)
	v_sub_co_u32 v38, s2, v33, s62
	v_add_nc_u64_e32 v[40:41], 1, v[36:37]
	v_subrev_co_ci_u32_e64 v3, null, 0, v3, s2
	s_delay_alu instid0(VALU_DEP_3) | instskip(SKIP_1) | instid1(VALU_DEP_3)
	v_cmp_le_u32_e32 vcc_lo, s62, v38
	v_cndmask_b32_e64 v38, 0, -1, vcc_lo
	v_cmp_le_u32_e32 vcc_lo, s63, v3
	v_cndmask_b32_e64 v39, 0, -1, vcc_lo
	;; [unrolled: 2-line block ×4, first 2 shown]
	v_cmp_eq_u32_e32 vcc_lo, s63, v3
	v_cndmask_b32_e32 v3, v39, v38, vcc_lo
	v_cmp_eq_u32_e32 vcc_lo, s63, v42
	v_add_nc_u64_e32 v[38:39], 2, v[36:37]
	v_cndmask_b32_e32 v33, v43, v33, vcc_lo
	s_delay_alu instid0(VALU_DEP_4) | instskip(NEXT) | instid1(VALU_DEP_3)
	v_cmp_ne_u32_e32 vcc_lo, 0, v3
	v_cndmask_b32_e32 v3, v41, v39, vcc_lo
	s_delay_alu instid0(VALU_DEP_3) | instskip(SKIP_1) | instid1(VALU_DEP_1)
	v_cmp_ne_u32_e64 s2, 0, v33
	v_dual_cndmask_b32 v33, v40, v38, vcc_lo :: v_dual_bitop2_b32 v32, s60, v32 bitop3:0x14
	v_dual_cndmask_b32 v3, v37, v3, s2 :: v_dual_cndmask_b32 v36, v36, v33, s2
	s_delay_alu instid0(VALU_DEP_1) | instskip(NEXT) | instid1(VALU_DEP_2)
	v_dual_mov_b32 v33, v32 :: v_dual_bitop2_b32 v37, v3, v32 bitop3:0x14
	v_xor_b32_e32 v36, v36, v32
	s_delay_alu instid0(VALU_DEP_1)
	v_sub_nc_u64_e32 v[32:33], v[36:37], v[32:33]
.LBB4_55:                               ;   in Loop: Header=BB4_52 Depth=3
	s_and_not1_saveexec_b32 s2, s68
	s_cbranch_execz .LBB4_57
; %bb.56:                               ;   in Loop: Header=BB4_52 Depth=3
	v_cvt_f32_u32_e32 v3, s46
	s_sub_co_i32 s60, 0, s46
	s_delay_alu instid0(VALU_DEP_1) | instskip(SKIP_1) | instid1(TRANS32_DEP_1)
	v_rcp_iflag_f32_e32 v3, v3
	v_nop
	v_mul_f32_e32 v3, 0x4f7ffffe, v3
	s_delay_alu instid0(VALU_DEP_1) | instskip(NEXT) | instid1(VALU_DEP_1)
	v_cvt_u32_f32_e32 v3, v3
	v_mul_lo_u32 v32, s60, v3
	s_delay_alu instid0(VALU_DEP_1) | instskip(NEXT) | instid1(VALU_DEP_1)
	v_mul_hi_u32 v32, v3, v32
	v_add_nc_u32_e32 v3, v3, v32
	s_delay_alu instid0(VALU_DEP_1) | instskip(NEXT) | instid1(VALU_DEP_1)
	v_mul_hi_u32 v3, v26, v3
	v_mul_lo_u32 v32, v3, s46
	s_delay_alu instid0(VALU_DEP_1) | instskip(NEXT) | instid1(VALU_DEP_1)
	v_sub_nc_u32_e32 v32, v26, v32
	v_subrev_nc_u32_e32 v36, s46, v32
	v_cmp_le_u32_e32 vcc_lo, s46, v32
	s_delay_alu instid0(VALU_DEP_2) | instskip(NEXT) | instid1(VALU_DEP_1)
	v_dual_cndmask_b32 v32, v32, v36 :: v_dual_add_nc_u32 v33, 1, v3
	v_cndmask_b32_e32 v3, v3, v33, vcc_lo
	s_delay_alu instid0(VALU_DEP_2) | instskip(NEXT) | instid1(VALU_DEP_2)
	v_cmp_le_u32_e32 vcc_lo, s46, v32
	v_add_nc_u32_e32 v33, 1, v3
	s_delay_alu instid0(VALU_DEP_1)
	v_dual_cndmask_b32 v32, v3, v33 :: v_dual_mov_b32 v33, v2
.LBB4_57:                               ;   in Loop: Header=BB4_52 Depth=3
	s_or_b32 exec_lo, exec_lo, s2
	s_delay_alu instid0(VALU_DEP_1) | instskip(SKIP_1) | instid1(VALU_DEP_1)
	v_mul_u64_e32 v[36:37], s[46:47], v[32:33]
	s_mov_b32 s2, exec_lo
	v_sub_nc_u64_e32 v[36:37], v[26:27], v[36:37]
	s_delay_alu instid0(VALU_DEP_1)
	v_cmpx_eq_u64_e32 0, v[36:37]
	s_cbranch_execz .LBB4_50
; %bb.58:                               ;   in Loop: Header=BB4_52 Depth=3
	v_add_nc_u64_e32 v[32:33], v[24:25], v[32:33]
	s_delay_alu instid0(VALU_DEP_1) | instskip(NEXT) | instid1(VALU_DEP_1)
	v_mad_nc_u64_u32 v[36:37], v32, s48, v[18:19]
	v_mad_u32 v3, v33, s48, v37
	s_delay_alu instid0(VALU_DEP_2) | instskip(NEXT) | instid1(VALU_DEP_2)
	v_mad_nc_u64_u32 v[38:39], s54, v36, v[28:29]
	v_mad_u32 v3, v32, s49, v3
	s_delay_alu instid0(VALU_DEP_2) | instskip(NEXT) | instid1(VALU_DEP_1)
	v_mad_u32 v32, s55, v36, v39
	v_mad_u32 v39, s54, v3, v32
	global_load_u16 v3, v[38:39], off
	s_wait_loadcnt 0x0
	v_cvt_f32_f16_e32 v3, v3
	s_delay_alu instid0(VALU_DEP_1)
	v_add_f32_e32 v35, v35, v3
	s_branch .LBB4_50
.LBB4_59:
	s_endpgm
	.section	.rodata,"a",@progbits
	.p2align	6, 0x0
	.amdhsa_kernel _ZN2at6native21col2im_batched_kernelIN3c104HalfEEEvlPKT_llllllllllllllPS4_l
		.amdhsa_group_segment_fixed_size 0
		.amdhsa_private_segment_fixed_size 0
		.amdhsa_kernarg_size 400
		.amdhsa_user_sgpr_count 2
		.amdhsa_user_sgpr_dispatch_ptr 0
		.amdhsa_user_sgpr_queue_ptr 0
		.amdhsa_user_sgpr_kernarg_segment_ptr 1
		.amdhsa_user_sgpr_dispatch_id 0
		.amdhsa_user_sgpr_kernarg_preload_length 0
		.amdhsa_user_sgpr_kernarg_preload_offset 0
		.amdhsa_user_sgpr_private_segment_size 0
		.amdhsa_wavefront_size32 1
		.amdhsa_uses_dynamic_stack 0
		.amdhsa_enable_private_segment 0
		.amdhsa_system_sgpr_workgroup_id_x 1
		.amdhsa_system_sgpr_workgroup_id_y 0
		.amdhsa_system_sgpr_workgroup_id_z 0
		.amdhsa_system_sgpr_workgroup_info 0
		.amdhsa_system_vgpr_workitem_id 0
		.amdhsa_next_free_vgpr 48
		.amdhsa_next_free_sgpr 79
		.amdhsa_named_barrier_count 0
		.amdhsa_reserve_vcc 1
		.amdhsa_float_round_mode_32 0
		.amdhsa_float_round_mode_16_64 0
		.amdhsa_float_denorm_mode_32 3
		.amdhsa_float_denorm_mode_16_64 3
		.amdhsa_fp16_overflow 0
		.amdhsa_memory_ordered 1
		.amdhsa_forward_progress 1
		.amdhsa_inst_pref_size 65
		.amdhsa_round_robin_scheduling 0
		.amdhsa_exception_fp_ieee_invalid_op 0
		.amdhsa_exception_fp_denorm_src 0
		.amdhsa_exception_fp_ieee_div_zero 0
		.amdhsa_exception_fp_ieee_overflow 0
		.amdhsa_exception_fp_ieee_underflow 0
		.amdhsa_exception_fp_ieee_inexact 0
		.amdhsa_exception_int_div_zero 0
	.end_amdhsa_kernel
	.section	.text._ZN2at6native21col2im_batched_kernelIN3c104HalfEEEvlPKT_llllllllllllllPS4_l,"axG",@progbits,_ZN2at6native21col2im_batched_kernelIN3c104HalfEEEvlPKT_llllllllllllllPS4_l,comdat
.Lfunc_end4:
	.size	_ZN2at6native21col2im_batched_kernelIN3c104HalfEEEvlPKT_llllllllllllllPS4_l, .Lfunc_end4-_ZN2at6native21col2im_batched_kernelIN3c104HalfEEEvlPKT_llllllllllllllPS4_l
                                        ; -- End function
	.set _ZN2at6native21col2im_batched_kernelIN3c104HalfEEEvlPKT_llllllllllllllPS4_l.num_vgpr, 48
	.set _ZN2at6native21col2im_batched_kernelIN3c104HalfEEEvlPKT_llllllllllllllPS4_l.num_agpr, 0
	.set _ZN2at6native21col2im_batched_kernelIN3c104HalfEEEvlPKT_llllllllllllllPS4_l.numbered_sgpr, 79
	.set _ZN2at6native21col2im_batched_kernelIN3c104HalfEEEvlPKT_llllllllllllllPS4_l.num_named_barrier, 0
	.set _ZN2at6native21col2im_batched_kernelIN3c104HalfEEEvlPKT_llllllllllllllPS4_l.private_seg_size, 0
	.set _ZN2at6native21col2im_batched_kernelIN3c104HalfEEEvlPKT_llllllllllllllPS4_l.uses_vcc, 1
	.set _ZN2at6native21col2im_batched_kernelIN3c104HalfEEEvlPKT_llllllllllllllPS4_l.uses_flat_scratch, 0
	.set _ZN2at6native21col2im_batched_kernelIN3c104HalfEEEvlPKT_llllllllllllllPS4_l.has_dyn_sized_stack, 0
	.set _ZN2at6native21col2im_batched_kernelIN3c104HalfEEEvlPKT_llllllllllllllPS4_l.has_recursion, 0
	.set _ZN2at6native21col2im_batched_kernelIN3c104HalfEEEvlPKT_llllllllllllllPS4_l.has_indirect_call, 0
	.section	.AMDGPU.csdata,"",@progbits
; Kernel info:
; codeLenInByte = 8208
; TotalNumSgprs: 81
; NumVgprs: 48
; ScratchSize: 0
; MemoryBound: 0
; FloatMode: 240
; IeeeMode: 1
; LDSByteSize: 0 bytes/workgroup (compile time only)
; SGPRBlocks: 0
; VGPRBlocks: 2
; NumSGPRsForWavesPerEU: 81
; NumVGPRsForWavesPerEU: 48
; NamedBarCnt: 0
; Occupancy: 16
; WaveLimiterHint : 0
; COMPUTE_PGM_RSRC2:SCRATCH_EN: 0
; COMPUTE_PGM_RSRC2:USER_SGPR: 2
; COMPUTE_PGM_RSRC2:TRAP_HANDLER: 0
; COMPUTE_PGM_RSRC2:TGID_X_EN: 1
; COMPUTE_PGM_RSRC2:TGID_Y_EN: 0
; COMPUTE_PGM_RSRC2:TGID_Z_EN: 0
; COMPUTE_PGM_RSRC2:TIDIG_COMP_CNT: 0
	.section	.text._ZN2at6native21col2im_batched_kernelIN3c108BFloat16EEEvlPKT_llllllllllllllPS4_l,"axG",@progbits,_ZN2at6native21col2im_batched_kernelIN3c108BFloat16EEEvlPKT_llllllllllllllPS4_l,comdat
	.protected	_ZN2at6native21col2im_batched_kernelIN3c108BFloat16EEEvlPKT_llllllllllllllPS4_l ; -- Begin function _ZN2at6native21col2im_batched_kernelIN3c108BFloat16EEEvlPKT_llllllllllllllPS4_l
	.globl	_ZN2at6native21col2im_batched_kernelIN3c108BFloat16EEEvlPKT_llllllllllllllPS4_l
	.p2align	8
	.type	_ZN2at6native21col2im_batched_kernelIN3c108BFloat16EEEvlPKT_llllllllllllllPS4_l,@function
_ZN2at6native21col2im_batched_kernelIN3c108BFloat16EEEvlPKT_llllllllllllllPS4_l: ; @_ZN2at6native21col2im_batched_kernelIN3c108BFloat16EEEvlPKT_llllllllllllllPS4_l
; %bb.0:
	s_load_b32 s2, s[0:1], 0x9c
	s_bfe_u32 s20, ttmp6, 0x4000c
	s_load_b512 s[4:19], s[0:1], 0x0
	v_mov_b32_e32 v2, 0
	s_add_co_i32 s20, s20, 1
	s_and_b32 s3, ttmp6, 15
	s_mul_i32 s20, ttmp9, s20
	s_getreg_b32 s21, hwreg(HW_REG_IB_STS2, 6, 4)
	v_mov_b32_e32 v1, v2
	s_add_co_i32 s3, s3, s20
	s_mov_b32 s20, exec_lo
	s_wait_kmcnt 0x0
	s_and_b32 s2, s2, 0xffff
	s_cmp_eq_u32 s21, 0
	s_mul_u64 s[10:11], s[10:11], s[4:5]
	s_cselect_b32 s3, ttmp9, s3
	s_delay_alu instid0(SALU_CYCLE_1) | instskip(SKIP_1) | instid1(VALU_DEP_1)
	v_mad_nc_u64_u32 v[0:1], s2, s3, v[0:1]
	s_mov_b32 s3, 0
	v_cmpx_gt_i64_e64 s[10:11], v[0:1]
	s_cbranch_execz .LBB5_59
; %bb.1:
	s_load_b512 s[36:51], s[0:1], 0x40
	s_add_nc_u64 s[20:21], s[0:1], 0x90
	v_cvt_f32_u32_e32 v3, s4
	s_load_b32 s26, s[20:21], 0x0
	s_add_nc_u64 s[52:53], s[16:17], -1
	s_wait_xcnt 0x0
	s_load_b128 s[20:23], s[0:1], 0x80
	s_wait_xcnt 0x0
	s_add_nc_u64 s[0:1], s[18:19], -1
	v_rcp_iflag_f32_e32 v3, v3
	s_mul_u64 s[24:25], s[14:15], s[12:13]
	s_mov_b32 s27, s3
	s_lshl_b64 s[8:9], s[8:9], 1
	s_mov_b64 s[28:29], 0xffffffff
	s_ashr_i32 s30, s5, 31
	s_mov_b32 s33, 0
	v_nop
	v_mul_f32_e32 v3, 0x4f7ffffe, v3
	s_delay_alu instid0(VALU_DEP_1)
	v_cvt_u32_f32_e32 v34, v3
	s_wait_kmcnt 0x0
	s_mul_u64 s[34:35], s[46:47], s[0:1]
	s_mul_u64 s[52:53], s[44:45], s[52:53]
	s_lshl_b64 s[54:55], s[50:51], 1
	s_not_b64 s[56:57], s[52:53]
	s_not_b64 s[58:59], s[34:35]
	s_mul_i32 s26, s26, s2
	s_branch .LBB5_4
.LBB5_2:                                ;   in Loop: Header=BB5_4 Depth=1
	s_or_b32 exec_lo, exec_lo, s64
.LBB5_3:                                ;   in Loop: Header=BB5_4 Depth=1
	s_delay_alu instid0(SALU_CYCLE_1) | instskip(SKIP_4) | instid1(VALU_DEP_3)
	s_or_b32 exec_lo, exec_lo, s31
	v_mul_u64_e32 v[4:5], s[22:23], v[4:5]
	v_bfe_u32 v3, v35, 16, 1
	v_add_nc_u64_e32 v[0:1], s[26:27], v[0:1]
	v_cmp_o_f32_e64 s0, v35, v35
	v_add3_u32 v3, v35, v3, 0x7fff
	s_delay_alu instid0(VALU_DEP_3) | instskip(NEXT) | instid1(VALU_DEP_2)
	v_cmp_le_i64_e32 vcc_lo, s[10:11], v[0:1]
	v_lshrrev_b32_e32 v3, 16, v3
	s_or_b32 s33, vcc_lo, s33
	s_delay_alu instid0(VALU_DEP_1) | instskip(SKIP_1) | instid1(VALU_DEP_1)
	v_cndmask_b32_e64 v3, 0x7fc0, v3, s0
	v_lshl_add_u64 v[4:5], v[4:5], 1, s[20:21]
	v_lshl_add_u64 v[4:5], v[6:7], 1, v[4:5]
	global_store_b16 v[4:5], v3, off
	s_wait_xcnt 0x0
	s_and_not1_b32 exec_lo, exec_lo, s33
	s_cbranch_execz .LBB5_59
.LBB5_4:                                ; =>This Loop Header: Depth=1
                                        ;     Child Loop BB5_44 Depth 2
                                        ;       Child Loop BB5_52 Depth 3
	v_or_b32_e32 v3, s5, v1
                                        ; implicit-def: $vgpr4_vgpr5
	s_mov_b32 s0, exec_lo
	s_delay_alu instid0(VALU_DEP_1)
	v_cmpx_ne_u64_e32 0, v[2:3]
	s_xor_b32 s1, exec_lo, s0
	s_cbranch_execz .LBB5_6
; %bb.5:                                ;   in Loop: Header=BB5_4 Depth=1
	s_mov_b32 s31, s30
	v_dual_mov_b32 v9, v2 :: v_dual_ashrrev_i32 v4, 31, v1
	s_add_nc_u64 s[60:61], s[4:5], s[30:31]
	s_delay_alu instid0(SALU_CYCLE_1) | instskip(NEXT) | instid1(VALU_DEP_1)
	s_xor_b64 s[60:61], s[60:61], s[30:31]
	v_mov_b32_e32 v5, v4
	s_cvt_f32_u32 s0, s60
	s_cvt_f32_u32 s2, s61
	s_sub_nc_u64 s[64:65], 0, s[60:61]
	s_delay_alu instid0(VALU_DEP_1) | instskip(NEXT) | instid1(SALU_CYCLE_1)
	v_add_nc_u64_e32 v[6:7], v[0:1], v[4:5]
	s_fmamk_f32 s0, s2, 0x4f800000, s0
	v_mov_b32_e32 v13, v2
	s_delay_alu instid0(SALU_CYCLE_2) | instskip(NEXT) | instid1(VALU_DEP_2)
	v_s_rcp_f32 s0, s0
	v_xor_b32_e32 v8, v6, v4
	s_delay_alu instid0(VALU_DEP_3) | instskip(SKIP_1) | instid1(TRANS32_DEP_1)
	v_dual_mov_b32 v17, v2 :: v_dual_bitop2_b32 v12, v7, v4 bitop3:0x14
	v_xor_b32_e32 v4, s30, v4
	s_mul_f32 s0, s0, 0x5f7ffffc
	s_delay_alu instid0(SALU_CYCLE_3) | instskip(NEXT) | instid1(SALU_CYCLE_3)
	s_mul_f32 s2, s0, 0x2f800000
	s_trunc_f32 s2, s2
	s_delay_alu instid0(SALU_CYCLE_3) | instskip(SKIP_1) | instid1(SALU_CYCLE_2)
	s_fmamk_f32 s0, s2, 0xcf800000, s0
	s_cvt_u32_f32 s63, s2
	s_cvt_u32_f32 s62, s0
	s_delay_alu instid0(SALU_CYCLE_3) | instskip(NEXT) | instid1(SALU_CYCLE_1)
	s_mul_u64 s[66:67], s[64:65], s[62:63]
	s_mul_hi_u32 s69, s62, s67
	s_mul_i32 s68, s62, s67
	s_mul_hi_u32 s2, s62, s66
	s_mul_i32 s31, s63, s66
	s_add_nc_u64 s[68:69], s[2:3], s[68:69]
	s_mul_hi_u32 s0, s63, s66
	s_mul_hi_u32 s70, s63, s67
	s_add_co_u32 s2, s68, s31
	s_add_co_ci_u32 s2, s69, s0
	s_mul_i32 s66, s63, s67
	s_add_co_ci_u32 s67, s70, 0
	s_delay_alu instid0(SALU_CYCLE_1) | instskip(NEXT) | instid1(SALU_CYCLE_1)
	s_add_nc_u64 s[66:67], s[2:3], s[66:67]
	s_add_co_u32 s62, s62, s66
	s_cselect_b32 s0, -1, 0
	s_delay_alu instid0(SALU_CYCLE_1) | instskip(SKIP_1) | instid1(SALU_CYCLE_1)
	s_cmp_lg_u32 s0, 0
	s_add_co_ci_u32 s63, s63, s67
	s_mul_u64 s[64:65], s[64:65], s[62:63]
	s_delay_alu instid0(SALU_CYCLE_1)
	s_mul_hi_u32 s67, s62, s65
	s_mul_i32 s66, s62, s65
	s_mul_hi_u32 s2, s62, s64
	s_mul_i32 s31, s63, s64
	s_add_nc_u64 s[66:67], s[2:3], s[66:67]
	s_mul_hi_u32 s0, s63, s64
	s_mul_hi_u32 s68, s63, s65
	s_add_co_u32 s2, s66, s31
	s_add_co_ci_u32 s2, s67, s0
	s_mul_i32 s64, s63, s65
	s_add_co_ci_u32 s65, s68, 0
	s_delay_alu instid0(SALU_CYCLE_1) | instskip(NEXT) | instid1(SALU_CYCLE_1)
	s_add_nc_u64 s[64:65], s[2:3], s[64:65]
	s_add_co_u32 s0, s62, s64
	s_cselect_b32 s2, -1, 0
	v_mul_hi_u32 v16, v8, s0
	s_cmp_lg_u32 s2, 0
	s_add_co_ci_u32 s2, s63, s65
	s_and_b64 s[62:63], s[0:1], s[28:29]
	v_mul_u64_e32 v[10:11], s[2:3], v[8:9]
	v_mul_u64_e32 v[6:7], s[62:63], v[12:13]
	;; [unrolled: 1-line block ×3, first 2 shown]
	s_delay_alu instid0(VALU_DEP_3) | instskip(NEXT) | instid1(VALU_DEP_1)
	v_add_nc_u64_e32 v[10:11], v[16:17], v[10:11]
	v_add_co_u32 v3, vcc_lo, v10, v6
	s_delay_alu instid0(VALU_DEP_2) | instskip(NEXT) | instid1(VALU_DEP_4)
	v_add_co_ci_u32_e32 v16, vcc_lo, v11, v7, vcc_lo
	v_add_co_ci_u32_e32 v15, vcc_lo, 0, v15, vcc_lo
	s_delay_alu instid0(VALU_DEP_1) | instskip(NEXT) | instid1(VALU_DEP_1)
	v_add_nc_u64_e32 v[6:7], v[16:17], v[14:15]
	v_mul_u64_e32 v[10:11], s[60:61], v[6:7]
	s_delay_alu instid0(VALU_DEP_1) | instskip(NEXT) | instid1(VALU_DEP_2)
	v_sub_nc_u32_e32 v3, v12, v11
	v_sub_co_u32 v5, vcc_lo, v8, v10
	s_delay_alu instid0(VALU_DEP_1) | instskip(NEXT) | instid1(VALU_DEP_3)
	v_sub_co_ci_u32_e64 v12, null, v12, v11, vcc_lo
	v_subrev_co_ci_u32_e64 v3, null, s61, v3, vcc_lo
	s_delay_alu instid0(VALU_DEP_3) | instskip(SKIP_1) | instid1(VALU_DEP_3)
	v_sub_co_u32 v8, s0, v5, s60
	v_add_nc_u64_e32 v[10:11], 1, v[6:7]
	v_subrev_co_ci_u32_e64 v3, null, 0, v3, s0
	s_delay_alu instid0(VALU_DEP_3) | instskip(SKIP_1) | instid1(VALU_DEP_3)
	v_cmp_le_u32_e32 vcc_lo, s60, v8
	v_cndmask_b32_e64 v8, 0, -1, vcc_lo
	v_cmp_le_u32_e32 vcc_lo, s61, v3
	v_cndmask_b32_e64 v9, 0, -1, vcc_lo
	;; [unrolled: 2-line block ×4, first 2 shown]
	v_cmp_eq_u32_e32 vcc_lo, s61, v3
	v_cndmask_b32_e32 v3, v9, v8, vcc_lo
	v_cmp_eq_u32_e32 vcc_lo, s61, v12
	v_add_nc_u64_e32 v[8:9], 2, v[6:7]
	v_cndmask_b32_e32 v5, v13, v5, vcc_lo
	s_delay_alu instid0(VALU_DEP_4) | instskip(NEXT) | instid1(VALU_DEP_2)
	v_cmp_ne_u32_e32 vcc_lo, 0, v3
	v_cmp_ne_u32_e64 s0, 0, v5
	s_delay_alu instid0(VALU_DEP_4) | instskip(NEXT) | instid1(VALU_DEP_1)
	v_dual_cndmask_b32 v3, v11, v9, vcc_lo :: v_dual_cndmask_b32 v5, v10, v8, vcc_lo
	v_dual_cndmask_b32 v6, v6, v5, s0 :: v_dual_mov_b32 v5, v4
	s_delay_alu instid0(VALU_DEP_1) | instskip(NEXT) | instid1(VALU_DEP_1)
	v_dual_cndmask_b32 v3, v7, v3, s0 :: v_dual_bitop2_b32 v6, v6, v4 bitop3:0x14
	v_xor_b32_e32 v7, v3, v4
	s_delay_alu instid0(VALU_DEP_1)
	v_sub_nc_u64_e32 v[4:5], v[6:7], v[4:5]
.LBB5_6:                                ;   in Loop: Header=BB5_4 Depth=1
	s_and_not1_saveexec_b32 s0, s1
	s_cbranch_execz .LBB5_8
; %bb.7:                                ;   in Loop: Header=BB5_4 Depth=1
	s_sub_co_i32 s1, 0, s4
	s_delay_alu instid0(SALU_CYCLE_1) | instskip(NEXT) | instid1(VALU_DEP_1)
	v_mul_lo_u32 v3, s1, v34
	v_mul_hi_u32 v3, v34, v3
	s_delay_alu instid0(VALU_DEP_1) | instskip(NEXT) | instid1(VALU_DEP_1)
	v_add_nc_u32_e32 v3, v34, v3
	v_mul_hi_u32 v3, v0, v3
	s_delay_alu instid0(VALU_DEP_1) | instskip(NEXT) | instid1(VALU_DEP_1)
	v_mul_lo_u32 v4, v3, s4
	v_sub_nc_u32_e32 v4, v0, v4
	s_delay_alu instid0(VALU_DEP_1) | instskip(SKIP_1) | instid1(VALU_DEP_2)
	v_subrev_nc_u32_e32 v6, s4, v4
	v_cmp_le_u32_e32 vcc_lo, s4, v4
	v_dual_cndmask_b32 v4, v4, v6 :: v_dual_add_nc_u32 v5, 1, v3
	s_delay_alu instid0(VALU_DEP_1) | instskip(NEXT) | instid1(VALU_DEP_2)
	v_cndmask_b32_e32 v3, v3, v5, vcc_lo
	v_cmp_le_u32_e32 vcc_lo, s4, v4
	s_delay_alu instid0(VALU_DEP_2) | instskip(NEXT) | instid1(VALU_DEP_1)
	v_add_nc_u32_e32 v5, 1, v3
	v_dual_cndmask_b32 v4, v3, v5 :: v_dual_mov_b32 v5, v2
.LBB5_8:                                ;   in Loop: Header=BB5_4 Depth=1
	s_or_b32 exec_lo, exec_lo, s0
	s_delay_alu instid0(VALU_DEP_1) | instskip(SKIP_1) | instid1(VALU_DEP_1)
	v_mul_u64_e32 v[8:9], s[4:5], v[4:5]
                                        ; implicit-def: $vgpr16_vgpr17
	s_mov_b32 s0, exec_lo
	v_sub_nc_u64_e32 v[6:7], v[0:1], v[8:9]
	s_delay_alu instid0(VALU_DEP_1) | instskip(NEXT) | instid1(VALU_DEP_1)
	v_dual_ashrrev_i32 v10, 31, v7 :: v_dual_bitop2_b32 v3, s15, v7 bitop3:0x54
	v_cmpx_ne_u64_e32 0, v[2:3]
	s_xor_b32 s1, exec_lo, s0
	s_cbranch_execz .LBB5_10
; %bb.9:                                ;   in Loop: Header=BB5_4 Depth=1
	s_ashr_i32 s60, s15, 31
	v_dual_mov_b32 v11, v10 :: v_dual_mov_b32 v15, v2
	s_mov_b32 s61, s60
	v_mov_b32_e32 v19, v2
	s_add_nc_u64 s[62:63], s[14:15], s[60:61]
	s_delay_alu instid0(VALU_DEP_2)
	v_add_nc_u64_e32 v[12:13], v[6:7], v[10:11]
	s_xor_b64 s[62:63], s[62:63], s[60:61]
	v_mov_b32_e32 v23, v2
	s_cvt_f32_u32 s0, s62
	s_cvt_f32_u32 s2, s63
	s_sub_nc_u64 s[66:67], 0, s[62:63]
	s_delay_alu instid0(VALU_DEP_2) | instskip(NEXT) | instid1(SALU_CYCLE_1)
	v_xor_b32_e32 v14, v12, v10
	s_fmamk_f32 s0, s2, 0x4f800000, s0
	v_xor_b32_e32 v18, v13, v10
	s_delay_alu instid0(SALU_CYCLE_2) | instskip(NEXT) | instid1(TRANS32_DEP_1)
	v_s_rcp_f32 s0, s0
	s_mul_f32 s0, s0, 0x5f7ffffc
	s_delay_alu instid0(SALU_CYCLE_3) | instskip(NEXT) | instid1(SALU_CYCLE_3)
	s_mul_f32 s2, s0, 0x2f800000
	s_trunc_f32 s2, s2
	s_delay_alu instid0(SALU_CYCLE_3) | instskip(SKIP_1) | instid1(SALU_CYCLE_2)
	s_fmamk_f32 s0, s2, 0xcf800000, s0
	s_cvt_u32_f32 s65, s2
	s_cvt_u32_f32 s64, s0
	s_delay_alu instid0(SALU_CYCLE_3) | instskip(NEXT) | instid1(SALU_CYCLE_1)
	s_mul_u64 s[68:69], s[66:67], s[64:65]
	s_mul_hi_u32 s71, s64, s69
	s_mul_i32 s70, s64, s69
	s_mul_hi_u32 s2, s64, s68
	s_mul_i32 s31, s65, s68
	s_add_nc_u64 s[70:71], s[2:3], s[70:71]
	s_mul_hi_u32 s0, s65, s68
	s_mul_hi_u32 s61, s65, s69
	s_add_co_u32 s2, s70, s31
	s_add_co_ci_u32 s2, s71, s0
	s_mul_i32 s68, s65, s69
	s_add_co_ci_u32 s69, s61, 0
	s_delay_alu instid0(SALU_CYCLE_1) | instskip(NEXT) | instid1(SALU_CYCLE_1)
	s_add_nc_u64 s[68:69], s[2:3], s[68:69]
	s_add_co_u32 s64, s64, s68
	s_cselect_b32 s0, -1, 0
	s_delay_alu instid0(SALU_CYCLE_1) | instskip(SKIP_1) | instid1(SALU_CYCLE_1)
	s_cmp_lg_u32 s0, 0
	s_add_co_ci_u32 s65, s65, s69
	s_mul_u64 s[66:67], s[66:67], s[64:65]
	s_delay_alu instid0(SALU_CYCLE_1)
	s_mul_hi_u32 s69, s64, s67
	s_mul_i32 s68, s64, s67
	s_mul_hi_u32 s2, s64, s66
	s_mul_i32 s31, s65, s66
	s_add_nc_u64 s[68:69], s[2:3], s[68:69]
	s_mul_hi_u32 s0, s65, s66
	s_mul_hi_u32 s61, s65, s67
	s_add_co_u32 s2, s68, s31
	s_add_co_ci_u32 s2, s69, s0
	s_mul_i32 s66, s65, s67
	s_add_co_ci_u32 s67, s61, 0
	s_delay_alu instid0(SALU_CYCLE_1) | instskip(NEXT) | instid1(SALU_CYCLE_1)
	s_add_nc_u64 s[66:67], s[2:3], s[66:67]
	s_add_co_u32 s0, s64, s66
	s_cselect_b32 s2, -1, 0
	v_nop
	v_mul_hi_u32 v22, v14, s0
	s_cmp_lg_u32 s2, 0
	s_add_co_ci_u32 s2, s65, s67
	s_and_b64 s[64:65], s[0:1], s[28:29]
	v_mul_u64_e32 v[16:17], s[2:3], v[14:15]
	v_mul_u64_e32 v[12:13], s[64:65], v[18:19]
	;; [unrolled: 1-line block ×3, first 2 shown]
	s_delay_alu instid0(VALU_DEP_3) | instskip(NEXT) | instid1(VALU_DEP_1)
	v_add_nc_u64_e32 v[16:17], v[22:23], v[16:17]
	v_add_co_u32 v3, vcc_lo, v16, v12
	s_delay_alu instid0(VALU_DEP_2) | instskip(NEXT) | instid1(VALU_DEP_4)
	v_add_co_ci_u32_e32 v22, vcc_lo, v17, v13, vcc_lo
	v_add_co_ci_u32_e32 v21, vcc_lo, 0, v21, vcc_lo
	s_delay_alu instid0(VALU_DEP_1) | instskip(NEXT) | instid1(VALU_DEP_1)
	v_add_nc_u64_e32 v[12:13], v[22:23], v[20:21]
	v_mul_u64_e32 v[16:17], s[62:63], v[12:13]
	s_delay_alu instid0(VALU_DEP_1) | instskip(NEXT) | instid1(VALU_DEP_2)
	v_sub_nc_u32_e32 v3, v18, v17
	v_sub_co_u32 v11, vcc_lo, v14, v16
	s_delay_alu instid0(VALU_DEP_1) | instskip(NEXT) | instid1(VALU_DEP_3)
	v_sub_co_ci_u32_e64 v18, null, v18, v17, vcc_lo
	v_subrev_co_ci_u32_e64 v3, null, s63, v3, vcc_lo
	s_delay_alu instid0(VALU_DEP_3) | instskip(SKIP_1) | instid1(VALU_DEP_3)
	v_sub_co_u32 v14, s0, v11, s62
	v_add_nc_u64_e32 v[16:17], 1, v[12:13]
	v_subrev_co_ci_u32_e64 v3, null, 0, v3, s0
	s_delay_alu instid0(VALU_DEP_3) | instskip(SKIP_1) | instid1(VALU_DEP_3)
	v_cmp_le_u32_e32 vcc_lo, s62, v14
	v_cndmask_b32_e64 v14, 0, -1, vcc_lo
	v_cmp_le_u32_e32 vcc_lo, s63, v3
	v_cndmask_b32_e64 v15, 0, -1, vcc_lo
	;; [unrolled: 2-line block ×4, first 2 shown]
	v_cmp_eq_u32_e32 vcc_lo, s63, v3
	v_cndmask_b32_e32 v3, v15, v14, vcc_lo
	v_cmp_eq_u32_e32 vcc_lo, s63, v18
	v_add_nc_u64_e32 v[14:15], 2, v[12:13]
	v_cndmask_b32_e32 v11, v19, v11, vcc_lo
	s_delay_alu instid0(VALU_DEP_4) | instskip(NEXT) | instid1(VALU_DEP_2)
	v_cmp_ne_u32_e32 vcc_lo, 0, v3
	v_cmp_ne_u32_e64 s0, 0, v11
	s_delay_alu instid0(VALU_DEP_4) | instskip(NEXT) | instid1(VALU_DEP_1)
	v_dual_cndmask_b32 v3, v17, v15, vcc_lo :: v_dual_cndmask_b32 v11, v16, v14, vcc_lo
	v_dual_cndmask_b32 v3, v13, v3, s0 :: v_dual_bitop2_b32 v14, s60, v10 bitop3:0x14
	s_delay_alu instid0(VALU_DEP_1) | instskip(NEXT) | instid1(VALU_DEP_2)
	v_dual_mov_b32 v15, v14 :: v_dual_cndmask_b32 v11, v12, v11, s0
	v_xor_b32_e32 v13, v3, v14
	s_delay_alu instid0(VALU_DEP_2) | instskip(NEXT) | instid1(VALU_DEP_1)
	v_xor_b32_e32 v12, v11, v14
	v_sub_nc_u64_e32 v[16:17], v[12:13], v[14:15]
.LBB5_10:                               ;   in Loop: Header=BB5_4 Depth=1
	s_and_not1_saveexec_b32 s0, s1
	s_cbranch_execz .LBB5_12
; %bb.11:                               ;   in Loop: Header=BB5_4 Depth=1
	v_cvt_f32_u32_e32 v3, s14
	s_sub_co_i32 s1, 0, s14
	v_mov_b32_e32 v17, v2
	s_delay_alu instid0(VALU_DEP_2) | instskip(SKIP_1) | instid1(TRANS32_DEP_1)
	v_rcp_iflag_f32_e32 v3, v3
	v_nop
	v_mul_f32_e32 v3, 0x4f7ffffe, v3
	s_delay_alu instid0(VALU_DEP_1) | instskip(NEXT) | instid1(VALU_DEP_1)
	v_cvt_u32_f32_e32 v3, v3
	v_mul_lo_u32 v11, s1, v3
	s_delay_alu instid0(VALU_DEP_1) | instskip(NEXT) | instid1(VALU_DEP_1)
	v_mul_hi_u32 v11, v3, v11
	v_add_nc_u32_e32 v3, v3, v11
	s_delay_alu instid0(VALU_DEP_1) | instskip(NEXT) | instid1(VALU_DEP_1)
	v_mul_hi_u32 v3, v6, v3
	v_mul_lo_u32 v11, v3, s14
	s_delay_alu instid0(VALU_DEP_1) | instskip(NEXT) | instid1(VALU_DEP_1)
	v_sub_nc_u32_e32 v11, v6, v11
	v_subrev_nc_u32_e32 v13, s14, v11
	v_cmp_le_u32_e32 vcc_lo, s14, v11
	s_delay_alu instid0(VALU_DEP_2) | instskip(NEXT) | instid1(VALU_DEP_1)
	v_dual_cndmask_b32 v11, v11, v13 :: v_dual_add_nc_u32 v12, 1, v3
	v_cndmask_b32_e32 v3, v3, v12, vcc_lo
	s_delay_alu instid0(VALU_DEP_2) | instskip(NEXT) | instid1(VALU_DEP_2)
	v_cmp_le_u32_e32 vcc_lo, s14, v11
	v_add_nc_u32_e32 v12, 1, v3
	s_delay_alu instid0(VALU_DEP_1)
	v_cndmask_b32_e32 v16, v3, v12, vcc_lo
.LBB5_12:                               ;   in Loop: Header=BB5_4 Depth=1
	s_or_b32 exec_lo, exec_lo, s0
	s_delay_alu instid0(VALU_DEP_1) | instskip(SKIP_1) | instid1(VALU_DEP_1)
	v_or_b32_e32 v3, s13, v17
                                        ; implicit-def: $vgpr12_vgpr13
	s_mov_b32 s0, exec_lo
	v_cmpx_ne_u64_e32 0, v[2:3]
	s_xor_b32 s1, exec_lo, s0
	s_cbranch_execz .LBB5_14
; %bb.13:                               ;   in Loop: Header=BB5_4 Depth=1
	s_ashr_i32 s60, s13, 31
	v_dual_mov_b32 v19, v2 :: v_dual_ashrrev_i32 v12, 31, v17
	s_mov_b32 s61, s60
	v_mov_b32_e32 v27, v2
	s_add_nc_u64 s[62:63], s[12:13], s[60:61]
	s_delay_alu instid0(VALU_DEP_2) | instskip(SKIP_1) | instid1(SALU_CYCLE_1)
	v_mov_b32_e32 v13, v12
	s_xor_b64 s[60:61], s[62:63], s[60:61]
	s_cvt_f32_u32 s0, s60
	s_cvt_f32_u32 s2, s61
	s_sub_nc_u64 s[64:65], 0, s[60:61]
	v_add_nc_u64_e32 v[14:15], v[16:17], v[12:13]
	v_mov_b32_e32 v23, v2
	s_fmamk_f32 s0, s2, 0x4f800000, s0
	s_delay_alu instid0(SALU_CYCLE_3) | instskip(NEXT) | instid1(VALU_DEP_2)
	v_s_rcp_f32 s0, s0
	v_xor_b32_e32 v18, v14, v12
	s_delay_alu instid0(VALU_DEP_3) | instskip(NEXT) | instid1(TRANS32_DEP_1)
	v_xor_b32_e32 v22, v15, v12
	s_mul_f32 s0, s0, 0x5f7ffffc
	s_delay_alu instid0(SALU_CYCLE_3) | instskip(NEXT) | instid1(SALU_CYCLE_3)
	s_mul_f32 s2, s0, 0x2f800000
	s_trunc_f32 s2, s2
	s_delay_alu instid0(SALU_CYCLE_3) | instskip(SKIP_1) | instid1(SALU_CYCLE_2)
	s_fmamk_f32 s0, s2, 0xcf800000, s0
	s_cvt_u32_f32 s63, s2
	s_cvt_u32_f32 s62, s0
	s_delay_alu instid0(SALU_CYCLE_3) | instskip(NEXT) | instid1(SALU_CYCLE_1)
	s_mul_u64 s[66:67], s[64:65], s[62:63]
	s_mul_hi_u32 s69, s62, s67
	s_mul_i32 s68, s62, s67
	s_mul_hi_u32 s2, s62, s66
	s_mul_i32 s31, s63, s66
	s_add_nc_u64 s[68:69], s[2:3], s[68:69]
	s_mul_hi_u32 s0, s63, s66
	s_mul_hi_u32 s70, s63, s67
	s_add_co_u32 s2, s68, s31
	s_add_co_ci_u32 s2, s69, s0
	s_mul_i32 s66, s63, s67
	s_add_co_ci_u32 s67, s70, 0
	s_delay_alu instid0(SALU_CYCLE_1) | instskip(NEXT) | instid1(SALU_CYCLE_1)
	s_add_nc_u64 s[66:67], s[2:3], s[66:67]
	s_add_co_u32 s62, s62, s66
	s_cselect_b32 s0, -1, 0
	s_delay_alu instid0(SALU_CYCLE_1) | instskip(SKIP_1) | instid1(SALU_CYCLE_1)
	s_cmp_lg_u32 s0, 0
	s_add_co_ci_u32 s63, s63, s67
	s_mul_u64 s[64:65], s[64:65], s[62:63]
	s_delay_alu instid0(SALU_CYCLE_1)
	s_mul_hi_u32 s67, s62, s65
	s_mul_i32 s66, s62, s65
	s_mul_hi_u32 s2, s62, s64
	s_mul_i32 s31, s63, s64
	s_add_nc_u64 s[66:67], s[2:3], s[66:67]
	s_mul_hi_u32 s0, s63, s64
	s_mul_hi_u32 s68, s63, s65
	s_add_co_u32 s2, s66, s31
	s_add_co_ci_u32 s2, s67, s0
	s_mul_i32 s64, s63, s65
	s_add_co_ci_u32 s65, s68, 0
	s_delay_alu instid0(SALU_CYCLE_1) | instskip(NEXT) | instid1(SALU_CYCLE_1)
	s_add_nc_u64 s[64:65], s[2:3], s[64:65]
	s_add_co_u32 s0, s62, s64
	s_cselect_b32 s2, -1, 0
	v_mul_hi_u32 v26, v18, s0
	s_cmp_lg_u32 s2, 0
	s_add_co_ci_u32 s2, s63, s65
	s_and_b64 s[62:63], s[0:1], s[28:29]
	v_mul_u64_e32 v[20:21], s[2:3], v[18:19]
	v_mul_u64_e32 v[14:15], s[62:63], v[22:23]
	v_mul_u64_e32 v[24:25], s[2:3], v[22:23]
	s_delay_alu instid0(VALU_DEP_3) | instskip(NEXT) | instid1(VALU_DEP_1)
	v_add_nc_u64_e32 v[20:21], v[26:27], v[20:21]
	v_add_co_u32 v3, vcc_lo, v20, v14
	s_delay_alu instid0(VALU_DEP_2) | instskip(NEXT) | instid1(VALU_DEP_4)
	v_add_co_ci_u32_e32 v26, vcc_lo, v21, v15, vcc_lo
	v_add_co_ci_u32_e32 v25, vcc_lo, 0, v25, vcc_lo
	s_delay_alu instid0(VALU_DEP_1) | instskip(NEXT) | instid1(VALU_DEP_1)
	v_add_nc_u64_e32 v[14:15], v[26:27], v[24:25]
	v_mul_u64_e32 v[14:15], s[60:61], v[14:15]
	s_delay_alu instid0(VALU_DEP_1) | instskip(NEXT) | instid1(VALU_DEP_2)
	v_sub_nc_u32_e32 v3, v22, v15
	v_sub_co_u32 v11, vcc_lo, v18, v14
	s_delay_alu instid0(VALU_DEP_1) | instskip(NEXT) | instid1(VALU_DEP_3)
	v_sub_co_ci_u32_e64 v14, null, v22, v15, vcc_lo
	v_subrev_co_ci_u32_e64 v3, null, s61, v3, vcc_lo
	s_delay_alu instid0(VALU_DEP_3) | instskip(SKIP_1) | instid1(VALU_DEP_3)
	v_sub_co_u32 v15, vcc_lo, v11, s60
	v_cmp_le_u32_e64 s0, s60, v11
	v_subrev_co_ci_u32_e64 v18, null, 0, v3, vcc_lo
	v_subrev_co_ci_u32_e64 v3, null, s61, v3, vcc_lo
	s_delay_alu instid0(VALU_DEP_3) | instskip(SKIP_2) | instid1(VALU_DEP_2)
	v_cndmask_b32_e64 v19, 0, -1, s0
	v_cmp_le_u32_e64 s0, s60, v15
	v_cmp_le_u32_e32 vcc_lo, s61, v14
	v_cndmask_b32_e64 v20, 0, -1, s0
	v_cmp_le_u32_e64 s0, s61, v18
	v_cndmask_b32_e64 v22, 0, -1, vcc_lo
	v_cmp_eq_u32_e32 vcc_lo, s61, v18
	s_delay_alu instid0(VALU_DEP_3) | instskip(SKIP_1) | instid1(VALU_DEP_2)
	v_cndmask_b32_e64 v21, 0, -1, s0
	v_cmp_eq_u32_e64 s0, s61, v14
	v_cndmask_b32_e32 v20, v21, v20, vcc_lo
	v_sub_co_u32 v21, vcc_lo, v15, s60
	s_delay_alu instid0(VALU_DEP_1) | instskip(NEXT) | instid1(VALU_DEP_3)
	v_subrev_co_ci_u32_e64 v3, null, 0, v3, vcc_lo
	v_cmp_ne_u32_e32 vcc_lo, 0, v20
	v_cndmask_b32_e64 v19, v22, v19, s0
	s_delay_alu instid0(VALU_DEP_3) | instskip(NEXT) | instid1(VALU_DEP_2)
	v_dual_cndmask_b32 v3, v18, v3, vcc_lo :: v_dual_cndmask_b32 v15, v15, v21, vcc_lo
	v_cmp_ne_u32_e32 vcc_lo, 0, v19
	s_delay_alu instid0(VALU_DEP_2) | instskip(NEXT) | instid1(VALU_DEP_3)
	v_cndmask_b32_e32 v3, v14, v3, vcc_lo
	v_cndmask_b32_e32 v11, v11, v15, vcc_lo
	s_delay_alu instid0(VALU_DEP_2) | instskip(NEXT) | instid1(VALU_DEP_2)
	v_xor_b32_e32 v15, v3, v12
	v_xor_b32_e32 v14, v11, v12
	s_delay_alu instid0(VALU_DEP_1)
	v_sub_nc_u64_e32 v[12:13], v[14:15], v[12:13]
.LBB5_14:                               ;   in Loop: Header=BB5_4 Depth=1
	s_and_not1_saveexec_b32 s0, s1
	s_cbranch_execz .LBB5_16
; %bb.15:                               ;   in Loop: Header=BB5_4 Depth=1
	v_cvt_f32_u32_e32 v3, s12
	s_sub_co_i32 s1, 0, s12
	v_mov_b32_e32 v13, v2
	s_delay_alu instid0(VALU_DEP_2) | instskip(SKIP_1) | instid1(TRANS32_DEP_1)
	v_rcp_iflag_f32_e32 v3, v3
	v_nop
	v_mul_f32_e32 v3, 0x4f7ffffe, v3
	s_delay_alu instid0(VALU_DEP_1) | instskip(NEXT) | instid1(VALU_DEP_1)
	v_cvt_u32_f32_e32 v3, v3
	v_mul_lo_u32 v11, s1, v3
	s_delay_alu instid0(VALU_DEP_1) | instskip(NEXT) | instid1(VALU_DEP_1)
	v_mul_hi_u32 v11, v3, v11
	v_add_nc_u32_e32 v3, v3, v11
	s_delay_alu instid0(VALU_DEP_1) | instskip(NEXT) | instid1(VALU_DEP_1)
	v_mul_hi_u32 v3, v16, v3
	v_mul_lo_u32 v3, v3, s12
	s_delay_alu instid0(VALU_DEP_1) | instskip(NEXT) | instid1(VALU_DEP_1)
	v_sub_nc_u32_e32 v3, v16, v3
	v_subrev_nc_u32_e32 v11, s12, v3
	v_cmp_le_u32_e32 vcc_lo, s12, v3
	s_delay_alu instid0(VALU_DEP_2) | instskip(NEXT) | instid1(VALU_DEP_1)
	v_cndmask_b32_e32 v3, v3, v11, vcc_lo
	v_subrev_nc_u32_e32 v11, s12, v3
	v_cmp_le_u32_e32 vcc_lo, s12, v3
	s_delay_alu instid0(VALU_DEP_2)
	v_cndmask_b32_e32 v12, v3, v11, vcc_lo
.LBB5_16:                               ;   in Loop: Header=BB5_4 Depth=1
	s_or_b32 exec_lo, exec_lo, s0
	v_or_b32_e32 v3, s25, v7
                                        ; implicit-def: $vgpr14_vgpr15
	s_mov_b32 s0, exec_lo
	s_delay_alu instid0(VALU_DEP_1)
	v_cmpx_ne_u64_e32 0, v[2:3]
	s_xor_b32 s1, exec_lo, s0
	s_cbranch_execz .LBB5_18
; %bb.17:                               ;   in Loop: Header=BB5_4 Depth=1
	s_ashr_i32 s60, s25, 31
	v_dual_mov_b32 v11, v10 :: v_dual_mov_b32 v19, v2
	s_mov_b32 s61, s60
	v_mov_b32_e32 v27, v2
	s_add_nc_u64 s[62:63], s[24:25], s[60:61]
	s_delay_alu instid0(VALU_DEP_2)
	v_add_nc_u64_e32 v[14:15], v[6:7], v[10:11]
	s_xor_b64 s[62:63], s[62:63], s[60:61]
	v_mov_b32_e32 v23, v2
	s_cvt_f32_u32 s0, s62
	s_cvt_f32_u32 s2, s63
	s_sub_nc_u64 s[66:67], 0, s[62:63]
	s_delay_alu instid0(VALU_DEP_2) | instskip(NEXT) | instid1(SALU_CYCLE_1)
	v_xor_b32_e32 v18, v14, v10
	s_fmamk_f32 s0, s2, 0x4f800000, s0
	v_xor_b32_e32 v22, v15, v10
	v_xor_b32_e32 v10, s60, v10
	s_delay_alu instid0(SALU_CYCLE_1) | instskip(NEXT) | instid1(TRANS32_DEP_1)
	v_s_rcp_f32 s0, s0
	s_mul_f32 s0, s0, 0x5f7ffffc
	s_delay_alu instid0(SALU_CYCLE_3) | instskip(NEXT) | instid1(SALU_CYCLE_3)
	s_mul_f32 s2, s0, 0x2f800000
	s_trunc_f32 s2, s2
	s_delay_alu instid0(SALU_CYCLE_3) | instskip(SKIP_1) | instid1(SALU_CYCLE_2)
	s_fmamk_f32 s0, s2, 0xcf800000, s0
	s_cvt_u32_f32 s65, s2
	s_cvt_u32_f32 s64, s0
	s_delay_alu instid0(SALU_CYCLE_3) | instskip(NEXT) | instid1(SALU_CYCLE_1)
	s_mul_u64 s[68:69], s[66:67], s[64:65]
	s_mul_hi_u32 s71, s64, s69
	s_mul_i32 s70, s64, s69
	s_mul_hi_u32 s2, s64, s68
	s_mul_i32 s31, s65, s68
	s_add_nc_u64 s[70:71], s[2:3], s[70:71]
	s_mul_hi_u32 s0, s65, s68
	s_mul_hi_u32 s61, s65, s69
	s_add_co_u32 s2, s70, s31
	s_add_co_ci_u32 s2, s71, s0
	s_mul_i32 s68, s65, s69
	s_add_co_ci_u32 s69, s61, 0
	s_delay_alu instid0(SALU_CYCLE_1) | instskip(NEXT) | instid1(SALU_CYCLE_1)
	s_add_nc_u64 s[68:69], s[2:3], s[68:69]
	s_add_co_u32 s64, s64, s68
	s_cselect_b32 s0, -1, 0
	s_delay_alu instid0(SALU_CYCLE_1) | instskip(SKIP_1) | instid1(SALU_CYCLE_1)
	s_cmp_lg_u32 s0, 0
	s_add_co_ci_u32 s65, s65, s69
	s_mul_u64 s[66:67], s[66:67], s[64:65]
	s_delay_alu instid0(SALU_CYCLE_1)
	s_mul_hi_u32 s69, s64, s67
	s_mul_i32 s68, s64, s67
	s_mul_hi_u32 s2, s64, s66
	s_mul_i32 s31, s65, s66
	s_add_nc_u64 s[68:69], s[2:3], s[68:69]
	s_mul_hi_u32 s0, s65, s66
	s_mul_hi_u32 s61, s65, s67
	s_add_co_u32 s2, s68, s31
	s_add_co_ci_u32 s2, s69, s0
	s_mul_i32 s66, s65, s67
	s_add_co_ci_u32 s67, s61, 0
	s_delay_alu instid0(SALU_CYCLE_1) | instskip(NEXT) | instid1(SALU_CYCLE_1)
	s_add_nc_u64 s[66:67], s[2:3], s[66:67]
	s_add_co_u32 s0, s64, s66
	s_cselect_b32 s2, -1, 0
	v_nop
	v_mul_hi_u32 v26, v18, s0
	s_cmp_lg_u32 s2, 0
	s_add_co_ci_u32 s2, s65, s67
	s_and_b64 s[64:65], s[0:1], s[28:29]
	v_mul_u64_e32 v[20:21], s[2:3], v[18:19]
	v_mul_u64_e32 v[14:15], s[64:65], v[22:23]
	;; [unrolled: 1-line block ×3, first 2 shown]
	s_delay_alu instid0(VALU_DEP_3) | instskip(NEXT) | instid1(VALU_DEP_1)
	v_add_nc_u64_e32 v[20:21], v[26:27], v[20:21]
	v_add_co_u32 v3, vcc_lo, v20, v14
	s_delay_alu instid0(VALU_DEP_2) | instskip(NEXT) | instid1(VALU_DEP_4)
	v_add_co_ci_u32_e32 v26, vcc_lo, v21, v15, vcc_lo
	v_add_co_ci_u32_e32 v25, vcc_lo, 0, v25, vcc_lo
	s_delay_alu instid0(VALU_DEP_1) | instskip(NEXT) | instid1(VALU_DEP_1)
	v_add_nc_u64_e32 v[14:15], v[26:27], v[24:25]
	v_mul_u64_e32 v[20:21], s[62:63], v[14:15]
	s_delay_alu instid0(VALU_DEP_1) | instskip(NEXT) | instid1(VALU_DEP_2)
	v_sub_nc_u32_e32 v3, v22, v21
	v_sub_co_u32 v11, vcc_lo, v18, v20
	s_delay_alu instid0(VALU_DEP_1) | instskip(NEXT) | instid1(VALU_DEP_3)
	v_sub_co_ci_u32_e64 v22, null, v22, v21, vcc_lo
	v_subrev_co_ci_u32_e64 v3, null, s63, v3, vcc_lo
	s_delay_alu instid0(VALU_DEP_3) | instskip(SKIP_1) | instid1(VALU_DEP_3)
	v_sub_co_u32 v18, s0, v11, s62
	v_add_nc_u64_e32 v[20:21], 1, v[14:15]
	v_subrev_co_ci_u32_e64 v3, null, 0, v3, s0
	s_delay_alu instid0(VALU_DEP_3) | instskip(SKIP_1) | instid1(VALU_DEP_3)
	v_cmp_le_u32_e32 vcc_lo, s62, v18
	v_cndmask_b32_e64 v18, 0, -1, vcc_lo
	v_cmp_le_u32_e32 vcc_lo, s63, v3
	v_cndmask_b32_e64 v19, 0, -1, vcc_lo
	;; [unrolled: 2-line block ×4, first 2 shown]
	v_cmp_eq_u32_e32 vcc_lo, s63, v3
	v_cndmask_b32_e32 v3, v19, v18, vcc_lo
	v_cmp_eq_u32_e32 vcc_lo, s63, v22
	v_add_nc_u64_e32 v[18:19], 2, v[14:15]
	v_cndmask_b32_e32 v11, v23, v11, vcc_lo
	s_delay_alu instid0(VALU_DEP_4) | instskip(NEXT) | instid1(VALU_DEP_2)
	v_cmp_ne_u32_e32 vcc_lo, 0, v3
	v_cmp_ne_u32_e64 s0, 0, v11
	s_delay_alu instid0(VALU_DEP_4) | instskip(NEXT) | instid1(VALU_DEP_1)
	v_dual_cndmask_b32 v3, v21, v19, vcc_lo :: v_dual_cndmask_b32 v11, v20, v18, vcc_lo
	v_cndmask_b32_e64 v3, v15, v3, s0
	s_delay_alu instid0(VALU_DEP_2) | instskip(NEXT) | instid1(VALU_DEP_2)
	v_cndmask_b32_e64 v14, v14, v11, s0
	v_dual_mov_b32 v11, v10 :: v_dual_bitop2_b32 v15, v3, v10 bitop3:0x14
	s_delay_alu instid0(VALU_DEP_2) | instskip(NEXT) | instid1(VALU_DEP_1)
	v_xor_b32_e32 v14, v14, v10
	v_sub_nc_u64_e32 v[14:15], v[14:15], v[10:11]
.LBB5_18:                               ;   in Loop: Header=BB5_4 Depth=1
	s_and_not1_saveexec_b32 s0, s1
	s_cbranch_execz .LBB5_20
; %bb.19:                               ;   in Loop: Header=BB5_4 Depth=1
	v_cvt_f32_u32_e32 v3, s24
	s_sub_co_i32 s1, 0, s24
	v_mov_b32_e32 v15, v2
	s_delay_alu instid0(VALU_DEP_2) | instskip(SKIP_1) | instid1(TRANS32_DEP_1)
	v_rcp_iflag_f32_e32 v3, v3
	v_nop
	v_mul_f32_e32 v3, 0x4f7ffffe, v3
	s_delay_alu instid0(VALU_DEP_1) | instskip(NEXT) | instid1(VALU_DEP_1)
	v_cvt_u32_f32_e32 v3, v3
	v_mul_lo_u32 v10, s1, v3
	s_delay_alu instid0(VALU_DEP_1) | instskip(NEXT) | instid1(VALU_DEP_1)
	v_mul_hi_u32 v10, v3, v10
	v_add_nc_u32_e32 v3, v3, v10
	s_delay_alu instid0(VALU_DEP_1) | instskip(NEXT) | instid1(VALU_DEP_1)
	v_mul_hi_u32 v3, v6, v3
	v_mul_lo_u32 v10, v3, s24
	s_delay_alu instid0(VALU_DEP_1) | instskip(NEXT) | instid1(VALU_DEP_1)
	v_sub_nc_u32_e32 v10, v6, v10
	v_subrev_nc_u32_e32 v14, s24, v10
	v_cmp_le_u32_e32 vcc_lo, s24, v10
	s_delay_alu instid0(VALU_DEP_2) | instskip(NEXT) | instid1(VALU_DEP_1)
	v_dual_cndmask_b32 v10, v10, v14 :: v_dual_add_nc_u32 v11, 1, v3
	v_cndmask_b32_e32 v3, v3, v11, vcc_lo
	s_delay_alu instid0(VALU_DEP_2) | instskip(NEXT) | instid1(VALU_DEP_2)
	v_cmp_le_u32_e32 vcc_lo, s24, v10
	v_add_nc_u32_e32 v11, 1, v3
	s_delay_alu instid0(VALU_DEP_1)
	v_cndmask_b32_e32 v14, v3, v11, vcc_lo
.LBB5_20:                               ;   in Loop: Header=BB5_4 Depth=1
	s_or_b32 exec_lo, exec_lo, s0
	v_mul_u64_e32 v[16:17], s[14:15], v[16:17]
	s_mov_b32 s1, exec_lo
	s_delay_alu instid0(VALU_DEP_1) | instskip(NEXT) | instid1(VALU_DEP_1)
	v_sub_nc_u64_e32 v[10:11], v[6:7], v[16:17]
	v_add_nc_u64_e32 v[18:19], s[38:39], v[10:11]
	v_mov_b64_e32 v[10:11], 0
	s_delay_alu instid0(VALU_DEP_2)
	v_cmpx_lt_i64_e64 s[34:35], v[18:19]
	s_cbranch_execz .LBB5_26
; %bb.21:                               ;   in Loop: Header=BB5_4 Depth=1
	v_add_nc_u64_e32 v[10:11], s[58:59], v[18:19]
                                        ; implicit-def: $vgpr20_vgpr21
	s_mov_b32 s0, exec_lo
	s_delay_alu instid0(VALU_DEP_1) | instskip(NEXT) | instid1(VALU_DEP_1)
	v_or_b32_e32 v3, s43, v11
	v_cmpx_ne_u64_e32 0, v[2:3]
	s_xor_b32 s31, exec_lo, s0
	s_cbranch_execz .LBB5_23
; %bb.22:                               ;   in Loop: Header=BB5_4 Depth=1
	s_ashr_i32 s60, s43, 31
	v_dual_mov_b32 v23, v2 :: v_dual_ashrrev_i32 v20, 31, v11
	s_mov_b32 s61, s60
	v_mov_b32_e32 v31, v2
	s_add_nc_u64 s[62:63], s[42:43], s[60:61]
	s_delay_alu instid0(VALU_DEP_2) | instskip(SKIP_1) | instid1(SALU_CYCLE_1)
	v_mov_b32_e32 v21, v20
	s_xor_b64 s[62:63], s[62:63], s[60:61]
	s_cvt_f32_u32 s0, s62
	s_cvt_f32_u32 s2, s63
	s_sub_nc_u64 s[66:67], 0, s[62:63]
	v_add_nc_u64_e32 v[10:11], v[10:11], v[20:21]
	v_mov_b32_e32 v27, v2
	s_fmamk_f32 s0, s2, 0x4f800000, s0
	s_delay_alu instid0(SALU_CYCLE_3) | instskip(NEXT) | instid1(VALU_DEP_2)
	v_s_rcp_f32 s0, s0
	v_xor_b32_e32 v22, v10, v20
	s_delay_alu instid0(VALU_DEP_3) | instskip(NEXT) | instid1(TRANS32_DEP_1)
	v_xor_b32_e32 v26, v11, v20
	s_mul_f32 s0, s0, 0x5f7ffffc
	s_delay_alu instid0(SALU_CYCLE_3) | instskip(NEXT) | instid1(SALU_CYCLE_3)
	s_mul_f32 s2, s0, 0x2f800000
	s_trunc_f32 s2, s2
	s_delay_alu instid0(SALU_CYCLE_3) | instskip(SKIP_1) | instid1(SALU_CYCLE_2)
	s_fmamk_f32 s0, s2, 0xcf800000, s0
	s_cvt_u32_f32 s65, s2
	s_cvt_u32_f32 s64, s0
	s_delay_alu instid0(SALU_CYCLE_3) | instskip(NEXT) | instid1(SALU_CYCLE_1)
	s_mul_u64 s[68:69], s[66:67], s[64:65]
	s_mul_hi_u32 s71, s64, s69
	s_mul_i32 s70, s64, s69
	s_mul_hi_u32 s2, s64, s68
	s_mul_i32 s61, s65, s68
	s_add_nc_u64 s[70:71], s[2:3], s[70:71]
	s_mul_hi_u32 s0, s65, s68
	s_mul_hi_u32 s72, s65, s69
	s_add_co_u32 s2, s70, s61
	s_add_co_ci_u32 s2, s71, s0
	s_mul_i32 s68, s65, s69
	s_add_co_ci_u32 s69, s72, 0
	s_delay_alu instid0(SALU_CYCLE_1) | instskip(NEXT) | instid1(SALU_CYCLE_1)
	s_add_nc_u64 s[68:69], s[2:3], s[68:69]
	s_add_co_u32 s64, s64, s68
	s_cselect_b32 s0, -1, 0
	s_delay_alu instid0(SALU_CYCLE_1) | instskip(SKIP_1) | instid1(SALU_CYCLE_1)
	s_cmp_lg_u32 s0, 0
	s_add_co_ci_u32 s65, s65, s69
	s_mul_u64 s[66:67], s[66:67], s[64:65]
	s_delay_alu instid0(SALU_CYCLE_1)
	s_mul_hi_u32 s69, s64, s67
	s_mul_i32 s68, s64, s67
	s_mul_hi_u32 s2, s64, s66
	s_mul_i32 s61, s65, s66
	s_add_nc_u64 s[68:69], s[2:3], s[68:69]
	s_mul_hi_u32 s0, s65, s66
	s_mul_hi_u32 s70, s65, s67
	s_add_co_u32 s2, s68, s61
	s_add_co_ci_u32 s2, s69, s0
	s_mul_i32 s66, s65, s67
	s_add_co_ci_u32 s67, s70, 0
	s_delay_alu instid0(SALU_CYCLE_1) | instskip(NEXT) | instid1(SALU_CYCLE_1)
	s_add_nc_u64 s[66:67], s[2:3], s[66:67]
	s_add_co_u32 s0, s64, s66
	s_cselect_b32 s2, -1, 0
	v_mul_hi_u32 v30, v22, s0
	s_cmp_lg_u32 s2, 0
	s_add_co_ci_u32 s2, s65, s67
	s_and_b64 s[64:65], s[0:1], s[28:29]
	v_mul_u64_e32 v[24:25], s[2:3], v[22:23]
	v_mul_u64_e32 v[10:11], s[64:65], v[26:27]
	;; [unrolled: 1-line block ×3, first 2 shown]
	s_delay_alu instid0(VALU_DEP_3) | instskip(NEXT) | instid1(VALU_DEP_1)
	v_add_nc_u64_e32 v[24:25], v[30:31], v[24:25]
	v_add_co_u32 v3, vcc_lo, v24, v10
	s_delay_alu instid0(VALU_DEP_2) | instskip(NEXT) | instid1(VALU_DEP_4)
	v_add_co_ci_u32_e32 v30, vcc_lo, v25, v11, vcc_lo
	v_add_co_ci_u32_e32 v29, vcc_lo, 0, v29, vcc_lo
	s_delay_alu instid0(VALU_DEP_1) | instskip(NEXT) | instid1(VALU_DEP_1)
	v_add_nc_u64_e32 v[10:11], v[30:31], v[28:29]
	v_mul_u64_e32 v[24:25], s[62:63], v[10:11]
	s_delay_alu instid0(VALU_DEP_1) | instskip(NEXT) | instid1(VALU_DEP_2)
	v_sub_nc_u32_e32 v3, v26, v25
	v_sub_co_u32 v21, vcc_lo, v22, v24
	s_delay_alu instid0(VALU_DEP_1) | instskip(NEXT) | instid1(VALU_DEP_3)
	v_sub_co_ci_u32_e64 v26, null, v26, v25, vcc_lo
	v_subrev_co_ci_u32_e64 v3, null, s63, v3, vcc_lo
	s_delay_alu instid0(VALU_DEP_3) | instskip(SKIP_1) | instid1(VALU_DEP_3)
	v_sub_co_u32 v22, s0, v21, s62
	v_add_nc_u64_e32 v[24:25], 1, v[10:11]
	v_subrev_co_ci_u32_e64 v3, null, 0, v3, s0
	s_delay_alu instid0(VALU_DEP_3) | instskip(SKIP_1) | instid1(VALU_DEP_3)
	v_cmp_le_u32_e32 vcc_lo, s62, v22
	v_cndmask_b32_e64 v22, 0, -1, vcc_lo
	v_cmp_le_u32_e32 vcc_lo, s63, v3
	v_cndmask_b32_e64 v23, 0, -1, vcc_lo
	;; [unrolled: 2-line block ×4, first 2 shown]
	v_cmp_eq_u32_e32 vcc_lo, s63, v3
	v_cndmask_b32_e32 v3, v23, v22, vcc_lo
	v_cmp_eq_u32_e32 vcc_lo, s63, v26
	v_add_nc_u64_e32 v[22:23], 2, v[10:11]
	v_cndmask_b32_e32 v21, v27, v21, vcc_lo
	s_delay_alu instid0(VALU_DEP_4) | instskip(NEXT) | instid1(VALU_DEP_3)
	v_cmp_ne_u32_e32 vcc_lo, 0, v3
	v_cndmask_b32_e32 v3, v25, v23, vcc_lo
	s_delay_alu instid0(VALU_DEP_3) | instskip(SKIP_1) | instid1(VALU_DEP_1)
	v_cmp_ne_u32_e64 s0, 0, v21
	v_dual_cndmask_b32 v21, v24, v22, vcc_lo :: v_dual_bitop2_b32 v20, s60, v20 bitop3:0x14
	v_dual_cndmask_b32 v3, v11, v3, s0 :: v_dual_cndmask_b32 v10, v10, v21, s0
	s_delay_alu instid0(VALU_DEP_1) | instskip(NEXT) | instid1(VALU_DEP_2)
	v_dual_mov_b32 v21, v20 :: v_dual_bitop2_b32 v11, v3, v20 bitop3:0x14
	v_xor_b32_e32 v10, v10, v20
	s_delay_alu instid0(VALU_DEP_1)
	v_sub_nc_u64_e32 v[20:21], v[10:11], v[20:21]
                                        ; implicit-def: $vgpr10_vgpr11
.LBB5_23:                               ;   in Loop: Header=BB5_4 Depth=1
	s_and_not1_saveexec_b32 s0, s31
	s_cbranch_execz .LBB5_25
; %bb.24:                               ;   in Loop: Header=BB5_4 Depth=1
	v_cvt_f32_u32_e32 v3, s42
	s_sub_co_i32 s2, 0, s42
	v_mov_b32_e32 v21, v2
	s_delay_alu instid0(VALU_DEP_2) | instskip(SKIP_1) | instid1(TRANS32_DEP_1)
	v_rcp_iflag_f32_e32 v3, v3
	v_nop
	v_mul_f32_e32 v3, 0x4f7ffffe, v3
	s_delay_alu instid0(VALU_DEP_1) | instskip(NEXT) | instid1(VALU_DEP_1)
	v_cvt_u32_f32_e32 v3, v3
	v_mul_lo_u32 v11, s2, v3
	s_delay_alu instid0(VALU_DEP_1) | instskip(NEXT) | instid1(VALU_DEP_1)
	v_mul_hi_u32 v11, v3, v11
	v_add_nc_u32_e32 v3, v3, v11
	s_delay_alu instid0(VALU_DEP_1) | instskip(NEXT) | instid1(VALU_DEP_1)
	v_mul_hi_u32 v3, v10, v3
	v_mul_lo_u32 v11, v3, s42
	s_delay_alu instid0(VALU_DEP_1) | instskip(SKIP_1) | instid1(VALU_DEP_2)
	v_sub_nc_u32_e32 v10, v10, v11
	v_add_nc_u32_e32 v11, 1, v3
	v_subrev_nc_u32_e32 v20, s42, v10
	v_cmp_le_u32_e32 vcc_lo, s42, v10
	s_delay_alu instid0(VALU_DEP_2) | instskip(NEXT) | instid1(VALU_DEP_1)
	v_dual_cndmask_b32 v10, v10, v20 :: v_dual_cndmask_b32 v3, v3, v11
	v_cmp_le_u32_e32 vcc_lo, s42, v10
	s_delay_alu instid0(VALU_DEP_2) | instskip(NEXT) | instid1(VALU_DEP_1)
	v_add_nc_u32_e32 v11, 1, v3
	v_cndmask_b32_e32 v20, v3, v11, vcc_lo
.LBB5_25:                               ;   in Loop: Header=BB5_4 Depth=1
	s_or_b32 exec_lo, exec_lo, s0
	s_delay_alu instid0(VALU_DEP_1)
	v_add_nc_u64_e32 v[10:11], 1, v[20:21]
.LBB5_26:                               ;   in Loop: Header=BB5_4 Depth=1
	s_or_b32 exec_lo, exec_lo, s1
	v_or_b32_e32 v3, s43, v19
                                        ; implicit-def: $vgpr22_vgpr23
	s_mov_b32 s0, exec_lo
	s_delay_alu instid0(VALU_DEP_1)
	v_cmpx_ne_u64_e32 0, v[2:3]
	s_xor_b32 s1, exec_lo, s0
	s_cbranch_execz .LBB5_28
; %bb.27:                               ;   in Loop: Header=BB5_4 Depth=1
	s_ashr_i32 s60, s43, 31
	v_dual_mov_b32 v23, v2 :: v_dual_ashrrev_i32 v20, 31, v19
	s_mov_b32 s61, s60
	v_mov_b32_e32 v31, v2
	s_add_nc_u64 s[62:63], s[42:43], s[60:61]
	s_delay_alu instid0(VALU_DEP_2) | instskip(SKIP_1) | instid1(SALU_CYCLE_1)
	v_mov_b32_e32 v21, v20
	s_xor_b64 s[62:63], s[62:63], s[60:61]
	s_cvt_f32_u32 s0, s62
	s_cvt_f32_u32 s2, s63
	s_sub_nc_u64 s[66:67], 0, s[62:63]
	v_add_nc_u64_e32 v[18:19], v[18:19], v[20:21]
	v_mov_b32_e32 v27, v2
	s_fmamk_f32 s0, s2, 0x4f800000, s0
	s_delay_alu instid0(SALU_CYCLE_3) | instskip(NEXT) | instid1(VALU_DEP_2)
	v_s_rcp_f32 s0, s0
	v_xor_b32_e32 v22, v18, v20
	s_delay_alu instid0(VALU_DEP_3) | instskip(NEXT) | instid1(TRANS32_DEP_1)
	v_xor_b32_e32 v26, v19, v20
	s_mul_f32 s0, s0, 0x5f7ffffc
	s_delay_alu instid0(SALU_CYCLE_3) | instskip(NEXT) | instid1(SALU_CYCLE_3)
	s_mul_f32 s2, s0, 0x2f800000
	s_trunc_f32 s2, s2
	s_delay_alu instid0(SALU_CYCLE_3) | instskip(SKIP_1) | instid1(SALU_CYCLE_2)
	s_fmamk_f32 s0, s2, 0xcf800000, s0
	s_cvt_u32_f32 s65, s2
	s_cvt_u32_f32 s64, s0
	s_delay_alu instid0(SALU_CYCLE_3) | instskip(NEXT) | instid1(SALU_CYCLE_1)
	s_mul_u64 s[68:69], s[66:67], s[64:65]
	s_mul_hi_u32 s71, s64, s69
	s_mul_i32 s70, s64, s69
	s_mul_hi_u32 s2, s64, s68
	s_mul_i32 s31, s65, s68
	s_add_nc_u64 s[70:71], s[2:3], s[70:71]
	s_mul_hi_u32 s0, s65, s68
	s_mul_hi_u32 s61, s65, s69
	s_add_co_u32 s2, s70, s31
	s_add_co_ci_u32 s2, s71, s0
	s_mul_i32 s68, s65, s69
	s_add_co_ci_u32 s69, s61, 0
	s_delay_alu instid0(SALU_CYCLE_1) | instskip(NEXT) | instid1(SALU_CYCLE_1)
	s_add_nc_u64 s[68:69], s[2:3], s[68:69]
	s_add_co_u32 s64, s64, s68
	s_cselect_b32 s0, -1, 0
	s_delay_alu instid0(SALU_CYCLE_1) | instskip(SKIP_1) | instid1(SALU_CYCLE_1)
	s_cmp_lg_u32 s0, 0
	s_add_co_ci_u32 s65, s65, s69
	s_mul_u64 s[66:67], s[66:67], s[64:65]
	s_delay_alu instid0(SALU_CYCLE_1)
	s_mul_hi_u32 s69, s64, s67
	s_mul_i32 s68, s64, s67
	s_mul_hi_u32 s2, s64, s66
	s_mul_i32 s31, s65, s66
	s_add_nc_u64 s[68:69], s[2:3], s[68:69]
	s_mul_hi_u32 s0, s65, s66
	s_mul_hi_u32 s61, s65, s67
	s_add_co_u32 s2, s68, s31
	s_add_co_ci_u32 s2, s69, s0
	s_mul_i32 s66, s65, s67
	s_add_co_ci_u32 s67, s61, 0
	s_delay_alu instid0(SALU_CYCLE_1) | instskip(NEXT) | instid1(SALU_CYCLE_1)
	s_add_nc_u64 s[66:67], s[2:3], s[66:67]
	s_add_co_u32 s0, s64, s66
	s_cselect_b32 s2, -1, 0
	v_mul_hi_u32 v30, v22, s0
	s_cmp_lg_u32 s2, 0
	s_add_co_ci_u32 s2, s65, s67
	s_and_b64 s[64:65], s[0:1], s[28:29]
	v_mul_u64_e32 v[24:25], s[2:3], v[22:23]
	v_mul_u64_e32 v[18:19], s[64:65], v[26:27]
	;; [unrolled: 1-line block ×3, first 2 shown]
	s_delay_alu instid0(VALU_DEP_3) | instskip(NEXT) | instid1(VALU_DEP_1)
	v_add_nc_u64_e32 v[24:25], v[30:31], v[24:25]
	v_add_co_u32 v3, vcc_lo, v24, v18
	s_delay_alu instid0(VALU_DEP_2) | instskip(NEXT) | instid1(VALU_DEP_4)
	v_add_co_ci_u32_e32 v30, vcc_lo, v25, v19, vcc_lo
	v_add_co_ci_u32_e32 v29, vcc_lo, 0, v29, vcc_lo
	s_delay_alu instid0(VALU_DEP_1) | instskip(NEXT) | instid1(VALU_DEP_1)
	v_add_nc_u64_e32 v[18:19], v[30:31], v[28:29]
	v_mul_u64_e32 v[24:25], s[62:63], v[18:19]
	s_delay_alu instid0(VALU_DEP_1) | instskip(NEXT) | instid1(VALU_DEP_2)
	v_sub_nc_u32_e32 v3, v26, v25
	v_sub_co_u32 v21, vcc_lo, v22, v24
	s_delay_alu instid0(VALU_DEP_1) | instskip(NEXT) | instid1(VALU_DEP_3)
	v_sub_co_ci_u32_e64 v26, null, v26, v25, vcc_lo
	v_subrev_co_ci_u32_e64 v3, null, s63, v3, vcc_lo
	s_delay_alu instid0(VALU_DEP_3) | instskip(SKIP_1) | instid1(VALU_DEP_3)
	v_sub_co_u32 v22, s0, v21, s62
	v_add_nc_u64_e32 v[24:25], 1, v[18:19]
	v_subrev_co_ci_u32_e64 v3, null, 0, v3, s0
	s_delay_alu instid0(VALU_DEP_3) | instskip(SKIP_1) | instid1(VALU_DEP_3)
	v_cmp_le_u32_e32 vcc_lo, s62, v22
	v_cndmask_b32_e64 v22, 0, -1, vcc_lo
	v_cmp_le_u32_e32 vcc_lo, s63, v3
	v_cndmask_b32_e64 v23, 0, -1, vcc_lo
	;; [unrolled: 2-line block ×4, first 2 shown]
	v_cmp_eq_u32_e32 vcc_lo, s63, v3
	v_cndmask_b32_e32 v3, v23, v22, vcc_lo
	v_cmp_eq_u32_e32 vcc_lo, s63, v26
	v_add_nc_u64_e32 v[22:23], 2, v[18:19]
	v_cndmask_b32_e32 v21, v27, v21, vcc_lo
	s_delay_alu instid0(VALU_DEP_4) | instskip(NEXT) | instid1(VALU_DEP_3)
	v_cmp_ne_u32_e32 vcc_lo, 0, v3
	v_cndmask_b32_e32 v3, v25, v23, vcc_lo
	s_delay_alu instid0(VALU_DEP_3) | instskip(SKIP_1) | instid1(VALU_DEP_1)
	v_cmp_ne_u32_e64 s0, 0, v21
	v_dual_cndmask_b32 v21, v24, v22, vcc_lo :: v_dual_bitop2_b32 v20, s60, v20 bitop3:0x14
	v_dual_cndmask_b32 v3, v19, v3, s0 :: v_dual_cndmask_b32 v18, v18, v21, s0
	s_delay_alu instid0(VALU_DEP_1) | instskip(NEXT) | instid1(VALU_DEP_2)
	v_dual_mov_b32 v21, v20 :: v_dual_bitop2_b32 v19, v3, v20 bitop3:0x14
	v_xor_b32_e32 v18, v18, v20
	s_delay_alu instid0(VALU_DEP_1)
	v_sub_nc_u64_e32 v[22:23], v[18:19], v[20:21]
                                        ; implicit-def: $vgpr18_vgpr19
.LBB5_28:                               ;   in Loop: Header=BB5_4 Depth=1
	s_and_not1_saveexec_b32 s0, s1
	s_cbranch_execz .LBB5_30
; %bb.29:                               ;   in Loop: Header=BB5_4 Depth=1
	v_cvt_f32_u32_e32 v3, s42
	s_sub_co_i32 s1, 0, s42
	v_mov_b32_e32 v23, v2
	s_delay_alu instid0(VALU_DEP_2) | instskip(SKIP_1) | instid1(TRANS32_DEP_1)
	v_rcp_iflag_f32_e32 v3, v3
	v_nop
	v_mul_f32_e32 v3, 0x4f7ffffe, v3
	s_delay_alu instid0(VALU_DEP_1) | instskip(NEXT) | instid1(VALU_DEP_1)
	v_cvt_u32_f32_e32 v3, v3
	v_mul_lo_u32 v19, s1, v3
	s_delay_alu instid0(VALU_DEP_1) | instskip(NEXT) | instid1(VALU_DEP_1)
	v_mul_hi_u32 v19, v3, v19
	v_add_nc_u32_e32 v3, v3, v19
	s_delay_alu instid0(VALU_DEP_1) | instskip(NEXT) | instid1(VALU_DEP_1)
	v_mul_hi_u32 v3, v18, v3
	v_mul_lo_u32 v19, v3, s42
	s_delay_alu instid0(VALU_DEP_1) | instskip(SKIP_1) | instid1(VALU_DEP_2)
	v_sub_nc_u32_e32 v18, v18, v19
	v_add_nc_u32_e32 v19, 1, v3
	v_subrev_nc_u32_e32 v20, s42, v18
	v_cmp_le_u32_e32 vcc_lo, s42, v18
	s_delay_alu instid0(VALU_DEP_2) | instskip(NEXT) | instid1(VALU_DEP_1)
	v_dual_cndmask_b32 v18, v18, v20 :: v_dual_cndmask_b32 v3, v3, v19
	v_cmp_le_u32_e32 vcc_lo, s42, v18
	s_delay_alu instid0(VALU_DEP_2) | instskip(NEXT) | instid1(VALU_DEP_1)
	v_add_nc_u32_e32 v19, 1, v3
	v_cndmask_b32_e32 v22, v3, v19, vcc_lo
.LBB5_30:                               ;   in Loop: Header=BB5_4 Depth=1
	s_or_b32 exec_lo, exec_lo, s0
	v_add_nc_u64_e32 v[12:13], s[36:37], v[12:13]
	v_mov_b64_e32 v[18:19], 0
	s_mov_b32 s1, exec_lo
	s_delay_alu instid0(VALU_DEP_2)
	v_cmpx_lt_i64_e64 s[52:53], v[12:13]
	s_cbranch_execz .LBB5_36
; %bb.31:                               ;   in Loop: Header=BB5_4 Depth=1
	v_add_nc_u64_e32 v[18:19], s[56:57], v[12:13]
                                        ; implicit-def: $vgpr20_vgpr21
	s_mov_b32 s0, exec_lo
	s_delay_alu instid0(VALU_DEP_1) | instskip(NEXT) | instid1(VALU_DEP_1)
	v_or_b32_e32 v3, s41, v19
	v_cmpx_ne_u64_e32 0, v[2:3]
	s_xor_b32 s31, exec_lo, s0
	s_cbranch_execz .LBB5_33
; %bb.32:                               ;   in Loop: Header=BB5_4 Depth=1
	s_ashr_i32 s60, s41, 31
	v_dual_mov_b32 v25, v2 :: v_dual_ashrrev_i32 v20, 31, v19
	s_mov_b32 s61, s60
	s_delay_alu instid0(SALU_CYCLE_1) | instskip(NEXT) | instid1(VALU_DEP_1)
	s_add_nc_u64 s[62:63], s[40:41], s[60:61]
	v_mov_b32_e32 v21, v20
	s_xor_b64 s[62:63], s[62:63], s[60:61]
	s_delay_alu instid0(SALU_CYCLE_1)
	s_cvt_f32_u32 s0, s62
	s_cvt_f32_u32 s2, s63
	s_sub_nc_u64 s[66:67], 0, s[62:63]
	v_add_nc_u64_e32 v[18:19], v[18:19], v[20:21]
	v_mov_b32_e32 v29, v2
	s_fmamk_f32 s0, s2, 0x4f800000, s0
	s_delay_alu instid0(SALU_CYCLE_3) | instskip(NEXT) | instid1(VALU_DEP_2)
	v_s_rcp_f32 s0, s0
	v_xor_b32_e32 v24, v18, v20
	s_delay_alu instid0(VALU_DEP_3) | instskip(SKIP_1) | instid1(TRANS32_DEP_1)
	v_dual_mov_b32 v33, v2 :: v_dual_bitop2_b32 v28, v19, v20 bitop3:0x14
	v_xor_b32_e32 v20, s60, v20
	s_mul_f32 s0, s0, 0x5f7ffffc
	s_delay_alu instid0(SALU_CYCLE_3) | instskip(NEXT) | instid1(SALU_CYCLE_3)
	s_mul_f32 s2, s0, 0x2f800000
	s_trunc_f32 s2, s2
	s_delay_alu instid0(SALU_CYCLE_3) | instskip(SKIP_1) | instid1(SALU_CYCLE_2)
	s_fmamk_f32 s0, s2, 0xcf800000, s0
	s_cvt_u32_f32 s65, s2
	s_cvt_u32_f32 s64, s0
	s_delay_alu instid0(SALU_CYCLE_3) | instskip(NEXT) | instid1(SALU_CYCLE_1)
	s_mul_u64 s[68:69], s[66:67], s[64:65]
	s_mul_hi_u32 s71, s64, s69
	s_mul_i32 s70, s64, s69
	s_mul_hi_u32 s2, s64, s68
	s_mul_i32 s61, s65, s68
	s_add_nc_u64 s[70:71], s[2:3], s[70:71]
	s_mul_hi_u32 s0, s65, s68
	s_mul_hi_u32 s72, s65, s69
	s_add_co_u32 s2, s70, s61
	s_add_co_ci_u32 s2, s71, s0
	s_mul_i32 s68, s65, s69
	s_add_co_ci_u32 s69, s72, 0
	s_delay_alu instid0(SALU_CYCLE_1) | instskip(NEXT) | instid1(SALU_CYCLE_1)
	s_add_nc_u64 s[68:69], s[2:3], s[68:69]
	s_add_co_u32 s64, s64, s68
	s_cselect_b32 s0, -1, 0
	s_delay_alu instid0(SALU_CYCLE_1) | instskip(SKIP_1) | instid1(SALU_CYCLE_1)
	s_cmp_lg_u32 s0, 0
	s_add_co_ci_u32 s65, s65, s69
	s_mul_u64 s[66:67], s[66:67], s[64:65]
	s_delay_alu instid0(SALU_CYCLE_1)
	s_mul_hi_u32 s69, s64, s67
	s_mul_i32 s68, s64, s67
	s_mul_hi_u32 s2, s64, s66
	s_mul_i32 s61, s65, s66
	s_add_nc_u64 s[68:69], s[2:3], s[68:69]
	s_mul_hi_u32 s0, s65, s66
	s_mul_hi_u32 s70, s65, s67
	s_add_co_u32 s2, s68, s61
	s_add_co_ci_u32 s2, s69, s0
	s_mul_i32 s66, s65, s67
	s_add_co_ci_u32 s67, s70, 0
	s_delay_alu instid0(SALU_CYCLE_1) | instskip(NEXT) | instid1(SALU_CYCLE_1)
	s_add_nc_u64 s[66:67], s[2:3], s[66:67]
	s_add_co_u32 s0, s64, s66
	s_cselect_b32 s2, -1, 0
	v_mul_hi_u32 v32, v24, s0
	s_cmp_lg_u32 s2, 0
	s_add_co_ci_u32 s2, s65, s67
	s_and_b64 s[64:65], s[0:1], s[28:29]
	v_mul_u64_e32 v[26:27], s[2:3], v[24:25]
	v_mul_u64_e32 v[18:19], s[64:65], v[28:29]
	;; [unrolled: 1-line block ×3, first 2 shown]
	s_delay_alu instid0(VALU_DEP_3) | instskip(NEXT) | instid1(VALU_DEP_1)
	v_add_nc_u64_e32 v[26:27], v[32:33], v[26:27]
	v_add_co_u32 v3, vcc_lo, v26, v18
	s_delay_alu instid0(VALU_DEP_2) | instskip(NEXT) | instid1(VALU_DEP_4)
	v_add_co_ci_u32_e32 v32, vcc_lo, v27, v19, vcc_lo
	v_add_co_ci_u32_e32 v31, vcc_lo, 0, v31, vcc_lo
	s_delay_alu instid0(VALU_DEP_1) | instskip(NEXT) | instid1(VALU_DEP_1)
	v_add_nc_u64_e32 v[18:19], v[32:33], v[30:31]
	v_mul_u64_e32 v[26:27], s[62:63], v[18:19]
	s_delay_alu instid0(VALU_DEP_1) | instskip(NEXT) | instid1(VALU_DEP_2)
	v_sub_nc_u32_e32 v3, v28, v27
	v_sub_co_u32 v21, vcc_lo, v24, v26
	s_delay_alu instid0(VALU_DEP_1) | instskip(NEXT) | instid1(VALU_DEP_3)
	v_sub_co_ci_u32_e64 v28, null, v28, v27, vcc_lo
	v_subrev_co_ci_u32_e64 v3, null, s63, v3, vcc_lo
	s_delay_alu instid0(VALU_DEP_3) | instskip(SKIP_1) | instid1(VALU_DEP_3)
	v_sub_co_u32 v24, s0, v21, s62
	v_add_nc_u64_e32 v[26:27], 1, v[18:19]
	v_subrev_co_ci_u32_e64 v3, null, 0, v3, s0
	s_delay_alu instid0(VALU_DEP_3) | instskip(SKIP_1) | instid1(VALU_DEP_3)
	v_cmp_le_u32_e32 vcc_lo, s62, v24
	v_cndmask_b32_e64 v24, 0, -1, vcc_lo
	v_cmp_le_u32_e32 vcc_lo, s63, v3
	v_cndmask_b32_e64 v25, 0, -1, vcc_lo
	;; [unrolled: 2-line block ×4, first 2 shown]
	v_cmp_eq_u32_e32 vcc_lo, s63, v3
	v_cndmask_b32_e32 v3, v25, v24, vcc_lo
	v_cmp_eq_u32_e32 vcc_lo, s63, v28
	v_add_nc_u64_e32 v[24:25], 2, v[18:19]
	v_cndmask_b32_e32 v21, v29, v21, vcc_lo
	s_delay_alu instid0(VALU_DEP_4) | instskip(NEXT) | instid1(VALU_DEP_2)
	v_cmp_ne_u32_e32 vcc_lo, 0, v3
	v_cmp_ne_u32_e64 s0, 0, v21
	s_delay_alu instid0(VALU_DEP_4) | instskip(NEXT) | instid1(VALU_DEP_1)
	v_dual_cndmask_b32 v3, v27, v25, vcc_lo :: v_dual_cndmask_b32 v21, v26, v24, vcc_lo
	v_dual_cndmask_b32 v18, v18, v21, s0 :: v_dual_mov_b32 v21, v20
	s_delay_alu instid0(VALU_DEP_1) | instskip(NEXT) | instid1(VALU_DEP_1)
	v_dual_cndmask_b32 v3, v19, v3, s0 :: v_dual_bitop2_b32 v18, v18, v20 bitop3:0x14
	v_xor_b32_e32 v19, v3, v20
	s_delay_alu instid0(VALU_DEP_1)
	v_sub_nc_u64_e32 v[20:21], v[18:19], v[20:21]
                                        ; implicit-def: $vgpr18_vgpr19
.LBB5_33:                               ;   in Loop: Header=BB5_4 Depth=1
	s_and_not1_saveexec_b32 s0, s31
	s_cbranch_execz .LBB5_35
; %bb.34:                               ;   in Loop: Header=BB5_4 Depth=1
	v_cvt_f32_u32_e32 v3, s40
	s_sub_co_i32 s2, 0, s40
	v_mov_b32_e32 v21, v2
	s_delay_alu instid0(VALU_DEP_2) | instskip(SKIP_1) | instid1(TRANS32_DEP_1)
	v_rcp_iflag_f32_e32 v3, v3
	v_nop
	v_mul_f32_e32 v3, 0x4f7ffffe, v3
	s_delay_alu instid0(VALU_DEP_1) | instskip(NEXT) | instid1(VALU_DEP_1)
	v_cvt_u32_f32_e32 v3, v3
	v_mul_lo_u32 v19, s2, v3
	s_delay_alu instid0(VALU_DEP_1) | instskip(NEXT) | instid1(VALU_DEP_1)
	v_mul_hi_u32 v19, v3, v19
	v_add_nc_u32_e32 v3, v3, v19
	s_delay_alu instid0(VALU_DEP_1) | instskip(NEXT) | instid1(VALU_DEP_1)
	v_mul_hi_u32 v3, v18, v3
	v_mul_lo_u32 v19, v3, s40
	s_delay_alu instid0(VALU_DEP_1) | instskip(SKIP_1) | instid1(VALU_DEP_2)
	v_sub_nc_u32_e32 v18, v18, v19
	v_add_nc_u32_e32 v19, 1, v3
	v_subrev_nc_u32_e32 v20, s40, v18
	v_cmp_le_u32_e32 vcc_lo, s40, v18
	s_delay_alu instid0(VALU_DEP_2) | instskip(NEXT) | instid1(VALU_DEP_1)
	v_dual_cndmask_b32 v18, v18, v20 :: v_dual_cndmask_b32 v3, v3, v19
	v_cmp_le_u32_e32 vcc_lo, s40, v18
	s_delay_alu instid0(VALU_DEP_2) | instskip(NEXT) | instid1(VALU_DEP_1)
	v_add_nc_u32_e32 v19, 1, v3
	v_cndmask_b32_e32 v20, v3, v19, vcc_lo
.LBB5_35:                               ;   in Loop: Header=BB5_4 Depth=1
	s_or_b32 exec_lo, exec_lo, s0
	s_delay_alu instid0(VALU_DEP_1)
	v_add_nc_u64_e32 v[18:19], 1, v[20:21]
.LBB5_36:                               ;   in Loop: Header=BB5_4 Depth=1
	s_or_b32 exec_lo, exec_lo, s1
	v_or_b32_e32 v3, s41, v13
                                        ; implicit-def: $vgpr20_vgpr21
	s_mov_b32 s0, exec_lo
	s_delay_alu instid0(VALU_DEP_1)
	v_cmpx_ne_u64_e32 0, v[2:3]
	s_xor_b32 s1, exec_lo, s0
	s_cbranch_execz .LBB5_38
; %bb.37:                               ;   in Loop: Header=BB5_4 Depth=1
	s_ashr_i32 s60, s41, 31
	v_dual_mov_b32 v27, v2 :: v_dual_ashrrev_i32 v20, 31, v13
	s_mov_b32 s61, s60
	v_mov_b32_e32 v31, v2
	s_add_nc_u64 s[62:63], s[40:41], s[60:61]
	s_delay_alu instid0(VALU_DEP_2)
	v_mov_b32_e32 v21, v20
	s_xor_b64 s[62:63], s[62:63], s[60:61]
	v_mov_b32_e32 v37, v2
	s_cvt_f32_u32 s0, s62
	s_cvt_f32_u32 s2, s63
	s_sub_nc_u64 s[66:67], 0, s[62:63]
	v_add_nc_u64_e32 v[24:25], v[12:13], v[20:21]
	s_delay_alu instid0(SALU_CYCLE_1) | instskip(NEXT) | instid1(SALU_CYCLE_3)
	s_fmamk_f32 s0, s2, 0x4f800000, s0
	v_s_rcp_f32 s0, s0
	s_delay_alu instid0(VALU_DEP_1) | instskip(NEXT) | instid1(VALU_DEP_2)
	v_xor_b32_e32 v26, v24, v20
	v_xor_b32_e32 v30, v25, v20
	s_delay_alu instid0(TRANS32_DEP_1) | instskip(NEXT) | instid1(SALU_CYCLE_3)
	s_mul_f32 s0, s0, 0x5f7ffffc
	s_mul_f32 s2, s0, 0x2f800000
	s_delay_alu instid0(SALU_CYCLE_3) | instskip(NEXT) | instid1(SALU_CYCLE_3)
	s_trunc_f32 s2, s2
	s_fmamk_f32 s0, s2, 0xcf800000, s0
	s_cvt_u32_f32 s65, s2
	s_delay_alu instid0(SALU_CYCLE_2) | instskip(NEXT) | instid1(SALU_CYCLE_3)
	s_cvt_u32_f32 s64, s0
	s_mul_u64 s[68:69], s[66:67], s[64:65]
	s_delay_alu instid0(SALU_CYCLE_1)
	s_mul_hi_u32 s71, s64, s69
	s_mul_i32 s70, s64, s69
	s_mul_hi_u32 s2, s64, s68
	s_mul_i32 s31, s65, s68
	s_add_nc_u64 s[70:71], s[2:3], s[70:71]
	s_mul_hi_u32 s0, s65, s68
	s_mul_hi_u32 s61, s65, s69
	s_add_co_u32 s2, s70, s31
	s_add_co_ci_u32 s2, s71, s0
	s_mul_i32 s68, s65, s69
	s_add_co_ci_u32 s69, s61, 0
	s_delay_alu instid0(SALU_CYCLE_1) | instskip(NEXT) | instid1(SALU_CYCLE_1)
	s_add_nc_u64 s[68:69], s[2:3], s[68:69]
	s_add_co_u32 s64, s64, s68
	s_cselect_b32 s0, -1, 0
	s_delay_alu instid0(SALU_CYCLE_1) | instskip(SKIP_1) | instid1(SALU_CYCLE_1)
	s_cmp_lg_u32 s0, 0
	s_add_co_ci_u32 s65, s65, s69
	s_mul_u64 s[66:67], s[66:67], s[64:65]
	s_delay_alu instid0(SALU_CYCLE_1)
	s_mul_hi_u32 s69, s64, s67
	s_mul_i32 s68, s64, s67
	s_mul_hi_u32 s2, s64, s66
	s_mul_i32 s31, s65, s66
	s_add_nc_u64 s[68:69], s[2:3], s[68:69]
	s_mul_hi_u32 s0, s65, s66
	s_mul_hi_u32 s61, s65, s67
	s_add_co_u32 s2, s68, s31
	s_add_co_ci_u32 s2, s69, s0
	s_mul_i32 s66, s65, s67
	s_add_co_ci_u32 s67, s61, 0
	s_delay_alu instid0(SALU_CYCLE_1) | instskip(NEXT) | instid1(SALU_CYCLE_1)
	s_add_nc_u64 s[66:67], s[2:3], s[66:67]
	s_add_co_u32 s0, s64, s66
	s_cselect_b32 s2, -1, 0
	v_mul_hi_u32 v36, v26, s0
	s_cmp_lg_u32 s2, 0
	s_add_co_ci_u32 s2, s65, s67
	s_and_b64 s[64:65], s[0:1], s[28:29]
	v_mul_u64_e32 v[28:29], s[2:3], v[26:27]
	v_mul_u64_e32 v[24:25], s[64:65], v[30:31]
	;; [unrolled: 1-line block ×3, first 2 shown]
	s_delay_alu instid0(VALU_DEP_3) | instskip(NEXT) | instid1(VALU_DEP_1)
	v_add_nc_u64_e32 v[28:29], v[36:37], v[28:29]
	v_add_co_u32 v3, vcc_lo, v28, v24
	s_delay_alu instid0(VALU_DEP_2) | instskip(NEXT) | instid1(VALU_DEP_4)
	v_add_co_ci_u32_e32 v36, vcc_lo, v29, v25, vcc_lo
	v_add_co_ci_u32_e32 v33, vcc_lo, 0, v33, vcc_lo
	s_delay_alu instid0(VALU_DEP_1) | instskip(NEXT) | instid1(VALU_DEP_1)
	v_add_nc_u64_e32 v[24:25], v[36:37], v[32:33]
	v_mul_u64_e32 v[28:29], s[62:63], v[24:25]
	s_delay_alu instid0(VALU_DEP_1) | instskip(NEXT) | instid1(VALU_DEP_2)
	v_sub_nc_u32_e32 v3, v30, v29
	v_sub_co_u32 v21, vcc_lo, v26, v28
	s_delay_alu instid0(VALU_DEP_1) | instskip(NEXT) | instid1(VALU_DEP_3)
	v_sub_co_ci_u32_e64 v30, null, v30, v29, vcc_lo
	v_subrev_co_ci_u32_e64 v3, null, s63, v3, vcc_lo
	s_delay_alu instid0(VALU_DEP_3) | instskip(SKIP_1) | instid1(VALU_DEP_3)
	v_sub_co_u32 v26, s0, v21, s62
	v_add_nc_u64_e32 v[28:29], 1, v[24:25]
	v_subrev_co_ci_u32_e64 v3, null, 0, v3, s0
	s_delay_alu instid0(VALU_DEP_3) | instskip(SKIP_1) | instid1(VALU_DEP_3)
	v_cmp_le_u32_e32 vcc_lo, s62, v26
	v_cndmask_b32_e64 v26, 0, -1, vcc_lo
	v_cmp_le_u32_e32 vcc_lo, s63, v3
	v_cndmask_b32_e64 v27, 0, -1, vcc_lo
	;; [unrolled: 2-line block ×4, first 2 shown]
	v_cmp_eq_u32_e32 vcc_lo, s63, v3
	v_cndmask_b32_e32 v3, v27, v26, vcc_lo
	v_cmp_eq_u32_e32 vcc_lo, s63, v30
	v_add_nc_u64_e32 v[26:27], 2, v[24:25]
	v_cndmask_b32_e32 v21, v31, v21, vcc_lo
	s_delay_alu instid0(VALU_DEP_4) | instskip(NEXT) | instid1(VALU_DEP_3)
	v_cmp_ne_u32_e32 vcc_lo, 0, v3
	v_cndmask_b32_e32 v3, v29, v27, vcc_lo
	s_delay_alu instid0(VALU_DEP_3) | instskip(SKIP_1) | instid1(VALU_DEP_1)
	v_cmp_ne_u32_e64 s0, 0, v21
	v_dual_cndmask_b32 v21, v28, v26, vcc_lo :: v_dual_bitop2_b32 v20, s60, v20 bitop3:0x14
	v_dual_cndmask_b32 v3, v25, v3, s0 :: v_dual_cndmask_b32 v24, v24, v21, s0
	s_delay_alu instid0(VALU_DEP_1) | instskip(NEXT) | instid1(VALU_DEP_2)
	v_dual_mov_b32 v21, v20 :: v_dual_bitop2_b32 v25, v3, v20 bitop3:0x14
	v_xor_b32_e32 v24, v24, v20
	s_delay_alu instid0(VALU_DEP_1)
	v_sub_nc_u64_e32 v[20:21], v[24:25], v[20:21]
.LBB5_38:                               ;   in Loop: Header=BB5_4 Depth=1
	s_and_not1_saveexec_b32 s0, s1
	s_cbranch_execz .LBB5_40
; %bb.39:                               ;   in Loop: Header=BB5_4 Depth=1
	v_cvt_f32_u32_e32 v3, s40
	s_sub_co_i32 s1, 0, s40
	s_delay_alu instid0(VALU_DEP_1) | instskip(SKIP_1) | instid1(TRANS32_DEP_1)
	v_rcp_iflag_f32_e32 v3, v3
	v_nop
	v_mul_f32_e32 v3, 0x4f7ffffe, v3
	s_delay_alu instid0(VALU_DEP_1) | instskip(NEXT) | instid1(VALU_DEP_1)
	v_cvt_u32_f32_e32 v3, v3
	v_mul_lo_u32 v20, s1, v3
	s_delay_alu instid0(VALU_DEP_1) | instskip(NEXT) | instid1(VALU_DEP_1)
	v_mul_hi_u32 v20, v3, v20
	v_add_nc_u32_e32 v3, v3, v20
	s_delay_alu instid0(VALU_DEP_1) | instskip(NEXT) | instid1(VALU_DEP_1)
	v_mul_hi_u32 v3, v12, v3
	v_mul_lo_u32 v20, v3, s40
	s_delay_alu instid0(VALU_DEP_1) | instskip(NEXT) | instid1(VALU_DEP_1)
	v_sub_nc_u32_e32 v20, v12, v20
	v_subrev_nc_u32_e32 v24, s40, v20
	v_cmp_le_u32_e32 vcc_lo, s40, v20
	s_delay_alu instid0(VALU_DEP_2) | instskip(NEXT) | instid1(VALU_DEP_1)
	v_dual_cndmask_b32 v20, v20, v24 :: v_dual_add_nc_u32 v21, 1, v3
	v_cndmask_b32_e32 v3, v3, v21, vcc_lo
	s_delay_alu instid0(VALU_DEP_2) | instskip(NEXT) | instid1(VALU_DEP_2)
	v_cmp_le_u32_e32 vcc_lo, s40, v20
	v_add_nc_u32_e32 v21, 1, v3
	s_delay_alu instid0(VALU_DEP_1)
	v_dual_cndmask_b32 v20, v3, v21 :: v_dual_mov_b32 v21, v2
.LBB5_40:                               ;   in Loop: Header=BB5_4 Depth=1
	s_or_b32 exec_lo, exec_lo, s0
	s_delay_alu instid0(VALU_DEP_1) | instskip(SKIP_2) | instid1(VALU_DEP_2)
	v_add_nc_u64_e32 v[20:21], 1, v[20:21]
	v_mov_b32_e32 v35, 0
	s_mov_b32 s31, exec_lo
	v_min_i64 v[20:21], v[20:21], s[48:49]
	s_delay_alu instid0(VALU_DEP_1)
	v_cmpx_lt_i64_e64 v[18:19], v[20:21]
	s_cbranch_execz .LBB5_3
; %bb.41:                               ;   in Loop: Header=BB5_4 Depth=1
	v_mul_u64_e32 v[24:25], s[42:43], v[10:11]
	v_lshlrev_b64_e32 v[26:27], 1, v[10:11]
	v_add_nc_u64_e32 v[22:23], 1, v[22:23]
	v_mul_u64_e32 v[14:15], s[16:17], v[14:15]
	v_add_nc_u64_e32 v[28:29], s[38:39], v[0:1]
	v_mov_b32_e32 v35, 0
	s_mov_b32 s64, 0
	v_mad_nc_u64_u32 v[26:27], s8, v4, v[26:27]
	v_min_i64 v[22:23], v[22:23], s[50:51]
	s_delay_alu instid0(VALU_DEP_2) | instskip(NEXT) | instid1(VALU_DEP_1)
	v_mad_u32 v3, s9, v4, v27
	v_mad_u32 v27, s8, v5, v3
	v_sub_nc_u64_e32 v[24:25], v[28:29], v[24:25]
	s_delay_alu instid0(VALU_DEP_1) | instskip(SKIP_1) | instid1(VALU_DEP_4)
	v_sub_nc_u64_e32 v[24:25], v[24:25], v[16:17]
	v_cmp_lt_i64_e64 s0, v[10:11], v[22:23]
	v_add_nc_u64_e32 v[16:17], s[6:7], v[26:27]
	s_delay_alu instid0(VALU_DEP_3)
	v_sub_nc_u64_e32 v[8:9], v[24:25], v[8:9]
	s_branch .LBB5_44
.LBB5_42:                               ;   in Loop: Header=BB5_44 Depth=2
	s_or_b32 exec_lo, exec_lo, s66
.LBB5_43:                               ;   in Loop: Header=BB5_44 Depth=2
	s_delay_alu instid0(SALU_CYCLE_1) | instskip(SKIP_1) | instid1(VALU_DEP_1)
	s_or_b32 exec_lo, exec_lo, s65
	v_add_nc_u64_e32 v[18:19], 1, v[18:19]
	v_cmp_ge_i64_e32 vcc_lo, v[18:19], v[20:21]
	s_or_b32 s64, vcc_lo, s64
	s_delay_alu instid0(SALU_CYCLE_1)
	s_and_not1_b32 exec_lo, exec_lo, s64
	s_cbranch_execz .LBB5_2
.LBB5_44:                               ;   Parent Loop BB5_4 Depth=1
                                        ; =>  This Loop Header: Depth=2
                                        ;       Child Loop BB5_52 Depth 3
	s_delay_alu instid0(VALU_DEP_3)
	s_and_saveexec_b32 s65, s0
	s_cbranch_execz .LBB5_43
; %bb.45:                               ;   in Loop: Header=BB5_44 Depth=2
	v_mul_u64_e32 v[24:25], s[40:41], v[18:19]
	s_mov_b32 s1, exec_lo
	s_delay_alu instid0(VALU_DEP_1) | instskip(NEXT) | instid1(VALU_DEP_1)
	v_sub_nc_u64_e32 v[26:27], v[12:13], v[24:25]
                                        ; implicit-def: $vgpr24_vgpr25
	v_or_b32_e32 v3, s45, v27
	s_delay_alu instid0(VALU_DEP_1)
	v_cmpx_ne_u64_e32 0, v[2:3]
	s_xor_b32 s66, exec_lo, s1
	s_cbranch_execz .LBB5_47
; %bb.46:                               ;   in Loop: Header=BB5_44 Depth=2
	s_ashr_i32 s60, s45, 31
	v_dual_mov_b32 v31, v2 :: v_dual_ashrrev_i32 v24, 31, v27
	s_mov_b32 s61, s60
	v_mov_b32_e32 v37, v2
	s_add_nc_u64 s[62:63], s[44:45], s[60:61]
	s_delay_alu instid0(VALU_DEP_2)
	v_mov_b32_e32 v25, v24
	s_xor_b64 s[62:63], s[62:63], s[60:61]
	v_mov_b32_e32 v41, v2
	s_cvt_f32_u32 s1, s62
	s_cvt_f32_u32 s2, s63
	s_sub_nc_u64 s[70:71], 0, s[62:63]
	v_add_nc_u64_e32 v[28:29], v[26:27], v[24:25]
	s_delay_alu instid0(SALU_CYCLE_1) | instskip(NEXT) | instid1(SALU_CYCLE_3)
	s_fmamk_f32 s1, s2, 0x4f800000, s1
	v_s_rcp_f32 s1, s1
	s_delay_alu instid0(VALU_DEP_1) | instskip(NEXT) | instid1(VALU_DEP_2)
	v_xor_b32_e32 v30, v28, v24
	v_xor_b32_e32 v36, v29, v24
	;; [unrolled: 1-line block ×3, first 2 shown]
	s_delay_alu instid0(TRANS32_DEP_1) | instskip(NEXT) | instid1(SALU_CYCLE_3)
	s_mul_f32 s1, s1, 0x5f7ffffc
	s_mul_f32 s2, s1, 0x2f800000
	s_delay_alu instid0(SALU_CYCLE_3) | instskip(NEXT) | instid1(SALU_CYCLE_3)
	s_trunc_f32 s2, s2
	s_fmamk_f32 s1, s2, 0xcf800000, s1
	s_cvt_u32_f32 s69, s2
	s_delay_alu instid0(SALU_CYCLE_2) | instskip(NEXT) | instid1(SALU_CYCLE_3)
	s_cvt_u32_f32 s68, s1
	s_mul_u64 s[72:73], s[70:71], s[68:69]
	s_delay_alu instid0(SALU_CYCLE_1)
	s_mul_hi_u32 s75, s68, s73
	s_mul_i32 s74, s68, s73
	s_mul_hi_u32 s2, s68, s72
	s_mul_i32 s61, s69, s72
	s_add_nc_u64 s[74:75], s[2:3], s[74:75]
	s_mul_hi_u32 s1, s69, s72
	s_mul_hi_u32 s67, s69, s73
	s_add_co_u32 s2, s74, s61
	s_add_co_ci_u32 s2, s75, s1
	s_mul_i32 s72, s69, s73
	s_add_co_ci_u32 s73, s67, 0
	s_delay_alu instid0(SALU_CYCLE_1) | instskip(NEXT) | instid1(SALU_CYCLE_1)
	s_add_nc_u64 s[72:73], s[2:3], s[72:73]
	s_add_co_u32 s68, s68, s72
	s_cselect_b32 s1, -1, 0
	s_delay_alu instid0(SALU_CYCLE_1) | instskip(SKIP_1) | instid1(SALU_CYCLE_1)
	s_cmp_lg_u32 s1, 0
	s_add_co_ci_u32 s69, s69, s73
	s_mul_u64 s[70:71], s[70:71], s[68:69]
	s_delay_alu instid0(SALU_CYCLE_1)
	s_mul_hi_u32 s73, s68, s71
	s_mul_i32 s72, s68, s71
	s_mul_hi_u32 s2, s68, s70
	s_mul_i32 s61, s69, s70
	s_add_nc_u64 s[72:73], s[2:3], s[72:73]
	s_mul_hi_u32 s1, s69, s70
	s_mul_hi_u32 s67, s69, s71
	s_add_co_u32 s2, s72, s61
	s_add_co_ci_u32 s2, s73, s1
	s_mul_i32 s70, s69, s71
	s_add_co_ci_u32 s71, s67, 0
	s_delay_alu instid0(SALU_CYCLE_1) | instskip(NEXT) | instid1(SALU_CYCLE_1)
	s_add_nc_u64 s[70:71], s[2:3], s[70:71]
	s_add_co_u32 s68, s68, s70
	s_cselect_b32 s1, -1, 0
	v_mul_hi_u32 v40, v30, s68
	s_cmp_lg_u32 s1, 0
	s_add_co_ci_u32 s2, s69, s71
	s_and_b64 s[70:71], s[68:69], s[28:29]
	v_mul_u64_e32 v[32:33], s[2:3], v[30:31]
	v_mul_u64_e32 v[28:29], s[70:71], v[36:37]
	;; [unrolled: 1-line block ×3, first 2 shown]
	s_delay_alu instid0(VALU_DEP_3) | instskip(NEXT) | instid1(VALU_DEP_1)
	v_add_nc_u64_e32 v[32:33], v[40:41], v[32:33]
	v_add_co_u32 v3, vcc_lo, v32, v28
	s_delay_alu instid0(VALU_DEP_2) | instskip(NEXT) | instid1(VALU_DEP_4)
	v_add_co_ci_u32_e32 v40, vcc_lo, v33, v29, vcc_lo
	v_add_co_ci_u32_e32 v39, vcc_lo, 0, v39, vcc_lo
	s_delay_alu instid0(VALU_DEP_1) | instskip(NEXT) | instid1(VALU_DEP_1)
	v_add_nc_u64_e32 v[28:29], v[40:41], v[38:39]
	v_mul_u64_e32 v[32:33], s[62:63], v[28:29]
	s_delay_alu instid0(VALU_DEP_1) | instskip(NEXT) | instid1(VALU_DEP_2)
	v_sub_nc_u32_e32 v3, v36, v33
	v_sub_co_u32 v25, vcc_lo, v30, v32
	s_delay_alu instid0(VALU_DEP_1) | instskip(NEXT) | instid1(VALU_DEP_3)
	v_sub_co_ci_u32_e64 v36, null, v36, v33, vcc_lo
	v_subrev_co_ci_u32_e64 v3, null, s63, v3, vcc_lo
	s_delay_alu instid0(VALU_DEP_3) | instskip(SKIP_1) | instid1(VALU_DEP_3)
	v_sub_co_u32 v30, s1, v25, s62
	v_add_nc_u64_e32 v[32:33], 1, v[28:29]
	v_subrev_co_ci_u32_e64 v3, null, 0, v3, s1
	s_delay_alu instid0(VALU_DEP_3) | instskip(SKIP_1) | instid1(VALU_DEP_3)
	v_cmp_le_u32_e32 vcc_lo, s62, v30
	v_cndmask_b32_e64 v30, 0, -1, vcc_lo
	v_cmp_le_u32_e32 vcc_lo, s63, v3
	v_cndmask_b32_e64 v31, 0, -1, vcc_lo
	;; [unrolled: 2-line block ×4, first 2 shown]
	v_cmp_eq_u32_e32 vcc_lo, s63, v3
	v_cndmask_b32_e32 v3, v31, v30, vcc_lo
	v_cmp_eq_u32_e32 vcc_lo, s63, v36
	v_add_nc_u64_e32 v[30:31], 2, v[28:29]
	v_cndmask_b32_e32 v25, v37, v25, vcc_lo
	s_delay_alu instid0(VALU_DEP_4) | instskip(NEXT) | instid1(VALU_DEP_2)
	v_cmp_ne_u32_e32 vcc_lo, 0, v3
	v_cmp_ne_u32_e64 s1, 0, v25
	s_delay_alu instid0(VALU_DEP_4) | instskip(NEXT) | instid1(VALU_DEP_1)
	v_dual_cndmask_b32 v3, v33, v31, vcc_lo :: v_dual_cndmask_b32 v25, v32, v30, vcc_lo
	v_dual_cndmask_b32 v3, v29, v3, s1 :: v_dual_cndmask_b32 v28, v28, v25, s1
	s_delay_alu instid0(VALU_DEP_1) | instskip(NEXT) | instid1(VALU_DEP_2)
	v_dual_mov_b32 v25, v24 :: v_dual_bitop2_b32 v29, v3, v24 bitop3:0x14
	v_xor_b32_e32 v28, v28, v24
	s_delay_alu instid0(VALU_DEP_1)
	v_sub_nc_u64_e32 v[24:25], v[28:29], v[24:25]
.LBB5_47:                               ;   in Loop: Header=BB5_44 Depth=2
	s_and_not1_saveexec_b32 s1, s66
	s_cbranch_execz .LBB5_49
; %bb.48:                               ;   in Loop: Header=BB5_44 Depth=2
	v_cvt_f32_u32_e32 v3, s44
	s_sub_co_i32 s2, 0, s44
	s_delay_alu instid0(VALU_DEP_1) | instskip(SKIP_1) | instid1(TRANS32_DEP_1)
	v_rcp_iflag_f32_e32 v3, v3
	v_nop
	v_mul_f32_e32 v3, 0x4f7ffffe, v3
	s_delay_alu instid0(VALU_DEP_1) | instskip(NEXT) | instid1(VALU_DEP_1)
	v_cvt_u32_f32_e32 v3, v3
	v_mul_lo_u32 v24, s2, v3
	s_delay_alu instid0(VALU_DEP_1) | instskip(NEXT) | instid1(VALU_DEP_1)
	v_mul_hi_u32 v24, v3, v24
	v_add_nc_u32_e32 v3, v3, v24
	s_delay_alu instid0(VALU_DEP_1) | instskip(NEXT) | instid1(VALU_DEP_1)
	v_mul_hi_u32 v3, v26, v3
	v_mul_lo_u32 v24, v3, s44
	s_delay_alu instid0(VALU_DEP_1) | instskip(NEXT) | instid1(VALU_DEP_1)
	v_sub_nc_u32_e32 v24, v26, v24
	v_subrev_nc_u32_e32 v28, s44, v24
	v_cmp_le_u32_e32 vcc_lo, s44, v24
	s_delay_alu instid0(VALU_DEP_2) | instskip(NEXT) | instid1(VALU_DEP_1)
	v_dual_cndmask_b32 v24, v24, v28 :: v_dual_add_nc_u32 v25, 1, v3
	v_cndmask_b32_e32 v3, v3, v25, vcc_lo
	s_delay_alu instid0(VALU_DEP_2) | instskip(NEXT) | instid1(VALU_DEP_2)
	v_cmp_le_u32_e32 vcc_lo, s44, v24
	v_add_nc_u32_e32 v25, 1, v3
	s_delay_alu instid0(VALU_DEP_1)
	v_dual_cndmask_b32 v24, v3, v25 :: v_dual_mov_b32 v25, v2
.LBB5_49:                               ;   in Loop: Header=BB5_44 Depth=2
	s_or_b32 exec_lo, exec_lo, s1
	s_delay_alu instid0(VALU_DEP_1) | instskip(SKIP_3) | instid1(VALU_DEP_2)
	v_mul_u64_e32 v[28:29], s[44:45], v[24:25]
	v_add_nc_u64_e32 v[24:25], v[24:25], v[14:15]
	v_mov_b64_e32 v[30:31], v[10:11]
	s_mov_b32 s66, 0
	v_mul_u64_e32 v[24:25], s[18:19], v[24:25]
	s_delay_alu instid0(VALU_DEP_4) | instskip(SKIP_1) | instid1(VALU_DEP_2)
	v_sub_nc_u64_e32 v[26:27], v[26:27], v[28:29]
	v_mov_b64_e32 v[28:29], v[16:17]
	v_cmp_eq_u64_e64 s1, 0, v[26:27]
	v_mov_b64_e32 v[26:27], v[8:9]
	s_branch .LBB5_52
.LBB5_50:                               ;   in Loop: Header=BB5_52 Depth=3
	s_wait_xcnt 0x0
	s_or_b32 exec_lo, exec_lo, s2
.LBB5_51:                               ;   in Loop: Header=BB5_52 Depth=3
	s_delay_alu instid0(SALU_CYCLE_1) | instskip(SKIP_3) | instid1(VALU_DEP_3)
	s_or_b32 exec_lo, exec_lo, s67
	v_add_nc_u64_e32 v[30:31], 1, v[30:31]
	v_add_nc_u64_e32 v[28:29], 2, v[28:29]
	v_sub_nc_u64_e64 v[26:27], v[26:27], s[42:43]
	v_cmp_ge_i64_e32 vcc_lo, v[30:31], v[22:23]
	s_or_b32 s66, vcc_lo, s66
	s_delay_alu instid0(SALU_CYCLE_1)
	s_and_not1_b32 exec_lo, exec_lo, s66
	s_cbranch_execz .LBB5_42
.LBB5_52:                               ;   Parent Loop BB5_4 Depth=1
                                        ;     Parent Loop BB5_44 Depth=2
                                        ; =>    This Inner Loop Header: Depth=3
	s_delay_alu instid0(VALU_DEP_2)
	s_and_saveexec_b32 s67, s1
	s_cbranch_execz .LBB5_51
; %bb.53:                               ;   in Loop: Header=BB5_52 Depth=3
	s_delay_alu instid0(VALU_DEP_1) | instskip(SKIP_1) | instid1(VALU_DEP_1)
	v_or_b32_e32 v3, s47, v27
                                        ; implicit-def: $vgpr32_vgpr33
	s_mov_b32 s2, exec_lo
	v_cmpx_ne_u64_e32 0, v[2:3]
	s_xor_b32 s68, exec_lo, s2
	s_cbranch_execz .LBB5_55
; %bb.54:                               ;   in Loop: Header=BB5_52 Depth=3
	s_ashr_i32 s60, s47, 31
	v_dual_mov_b32 v39, v2 :: v_dual_ashrrev_i32 v32, 31, v27
	s_mov_b32 s61, s60
	v_mov_b32_e32 v43, v2
	s_add_nc_u64 s[62:63], s[46:47], s[60:61]
	s_delay_alu instid0(VALU_DEP_2)
	v_mov_b32_e32 v33, v32
	s_xor_b64 s[62:63], s[62:63], s[60:61]
	v_mov_b32_e32 v47, v2
	s_cvt_f32_u32 s2, s62
	s_cvt_f32_u32 s61, s63
	s_sub_nc_u64 s[72:73], 0, s[62:63]
	v_add_nc_u64_e32 v[36:37], v[26:27], v[32:33]
	s_delay_alu instid0(SALU_CYCLE_1) | instskip(NEXT) | instid1(SALU_CYCLE_3)
	s_fmamk_f32 s2, s61, 0x4f800000, s2
	v_s_rcp_f32 s2, s2
	s_delay_alu instid0(VALU_DEP_1) | instskip(NEXT) | instid1(VALU_DEP_2)
	v_xor_b32_e32 v38, v36, v32
	v_xor_b32_e32 v42, v37, v32
	s_delay_alu instid0(TRANS32_DEP_1) | instskip(NEXT) | instid1(SALU_CYCLE_3)
	s_mul_f32 s2, s2, 0x5f7ffffc
	s_mul_f32 s61, s2, 0x2f800000
	s_delay_alu instid0(SALU_CYCLE_3) | instskip(NEXT) | instid1(SALU_CYCLE_3)
	s_trunc_f32 s61, s61
	s_fmamk_f32 s2, s61, 0xcf800000, s2
	s_cvt_u32_f32 s71, s61
	s_delay_alu instid0(SALU_CYCLE_2) | instskip(NEXT) | instid1(SALU_CYCLE_3)
	s_cvt_u32_f32 s70, s2
	s_mul_u64 s[74:75], s[72:73], s[70:71]
	s_delay_alu instid0(SALU_CYCLE_1)
	s_mul_hi_u32 s77, s70, s75
	s_mul_i32 s76, s70, s75
	s_mul_hi_u32 s2, s70, s74
	s_mul_i32 s69, s71, s74
	s_add_nc_u64 s[76:77], s[2:3], s[76:77]
	s_mul_hi_u32 s61, s71, s74
	s_mul_hi_u32 s78, s71, s75
	s_add_co_u32 s2, s76, s69
	s_add_co_ci_u32 s2, s77, s61
	s_mul_i32 s74, s71, s75
	s_add_co_ci_u32 s75, s78, 0
	s_delay_alu instid0(SALU_CYCLE_1) | instskip(NEXT) | instid1(SALU_CYCLE_1)
	s_add_nc_u64 s[74:75], s[2:3], s[74:75]
	s_add_co_u32 s70, s70, s74
	s_cselect_b32 s2, -1, 0
	s_delay_alu instid0(SALU_CYCLE_1) | instskip(SKIP_1) | instid1(SALU_CYCLE_1)
	s_cmp_lg_u32 s2, 0
	s_add_co_ci_u32 s71, s71, s75
	s_mul_u64 s[72:73], s[72:73], s[70:71]
	s_delay_alu instid0(SALU_CYCLE_1)
	s_mul_hi_u32 s75, s70, s73
	s_mul_i32 s74, s70, s73
	s_mul_hi_u32 s2, s70, s72
	s_mul_i32 s69, s71, s72
	s_add_nc_u64 s[74:75], s[2:3], s[74:75]
	s_mul_hi_u32 s61, s71, s72
	s_mul_hi_u32 s76, s71, s73
	s_add_co_u32 s2, s74, s69
	s_add_co_ci_u32 s2, s75, s61
	s_mul_i32 s72, s71, s73
	s_add_co_ci_u32 s73, s76, 0
	s_delay_alu instid0(SALU_CYCLE_1) | instskip(NEXT) | instid1(SALU_CYCLE_1)
	s_add_nc_u64 s[72:73], s[2:3], s[72:73]
	s_add_co_u32 s70, s70, s72
	s_cselect_b32 s2, -1, 0
	v_mul_hi_u32 v46, v38, s70
	s_cmp_lg_u32 s2, 0
	s_add_co_ci_u32 s2, s71, s73
	s_and_b64 s[72:73], s[70:71], s[28:29]
	v_mul_u64_e32 v[40:41], s[2:3], v[38:39]
	v_mul_u64_e32 v[36:37], s[72:73], v[42:43]
	;; [unrolled: 1-line block ×3, first 2 shown]
	s_delay_alu instid0(VALU_DEP_3) | instskip(NEXT) | instid1(VALU_DEP_1)
	v_add_nc_u64_e32 v[40:41], v[46:47], v[40:41]
	v_add_co_u32 v3, vcc_lo, v40, v36
	s_delay_alu instid0(VALU_DEP_2) | instskip(NEXT) | instid1(VALU_DEP_4)
	v_add_co_ci_u32_e32 v46, vcc_lo, v41, v37, vcc_lo
	v_add_co_ci_u32_e32 v45, vcc_lo, 0, v45, vcc_lo
	s_delay_alu instid0(VALU_DEP_1) | instskip(NEXT) | instid1(VALU_DEP_1)
	v_add_nc_u64_e32 v[36:37], v[46:47], v[44:45]
	v_mul_u64_e32 v[40:41], s[62:63], v[36:37]
	s_delay_alu instid0(VALU_DEP_1) | instskip(NEXT) | instid1(VALU_DEP_2)
	v_sub_nc_u32_e32 v3, v42, v41
	v_sub_co_u32 v33, vcc_lo, v38, v40
	s_delay_alu instid0(VALU_DEP_1) | instskip(NEXT) | instid1(VALU_DEP_3)
	v_sub_co_ci_u32_e64 v42, null, v42, v41, vcc_lo
	v_subrev_co_ci_u32_e64 v3, null, s63, v3, vcc_lo
	s_delay_alu instid0(VALU_DEP_3) | instskip(SKIP_1) | instid1(VALU_DEP_3)
	v_sub_co_u32 v38, s2, v33, s62
	v_add_nc_u64_e32 v[40:41], 1, v[36:37]
	v_subrev_co_ci_u32_e64 v3, null, 0, v3, s2
	s_delay_alu instid0(VALU_DEP_3) | instskip(SKIP_1) | instid1(VALU_DEP_3)
	v_cmp_le_u32_e32 vcc_lo, s62, v38
	v_cndmask_b32_e64 v38, 0, -1, vcc_lo
	v_cmp_le_u32_e32 vcc_lo, s63, v3
	v_cndmask_b32_e64 v39, 0, -1, vcc_lo
	;; [unrolled: 2-line block ×4, first 2 shown]
	v_cmp_eq_u32_e32 vcc_lo, s63, v3
	v_cndmask_b32_e32 v3, v39, v38, vcc_lo
	v_cmp_eq_u32_e32 vcc_lo, s63, v42
	v_add_nc_u64_e32 v[38:39], 2, v[36:37]
	v_cndmask_b32_e32 v33, v43, v33, vcc_lo
	s_delay_alu instid0(VALU_DEP_4) | instskip(NEXT) | instid1(VALU_DEP_3)
	v_cmp_ne_u32_e32 vcc_lo, 0, v3
	v_cndmask_b32_e32 v3, v41, v39, vcc_lo
	s_delay_alu instid0(VALU_DEP_3) | instskip(SKIP_1) | instid1(VALU_DEP_1)
	v_cmp_ne_u32_e64 s2, 0, v33
	v_dual_cndmask_b32 v33, v40, v38, vcc_lo :: v_dual_bitop2_b32 v32, s60, v32 bitop3:0x14
	v_dual_cndmask_b32 v3, v37, v3, s2 :: v_dual_cndmask_b32 v36, v36, v33, s2
	s_delay_alu instid0(VALU_DEP_1) | instskip(NEXT) | instid1(VALU_DEP_2)
	v_dual_mov_b32 v33, v32 :: v_dual_bitop2_b32 v37, v3, v32 bitop3:0x14
	v_xor_b32_e32 v36, v36, v32
	s_delay_alu instid0(VALU_DEP_1)
	v_sub_nc_u64_e32 v[32:33], v[36:37], v[32:33]
.LBB5_55:                               ;   in Loop: Header=BB5_52 Depth=3
	s_and_not1_saveexec_b32 s2, s68
	s_cbranch_execz .LBB5_57
; %bb.56:                               ;   in Loop: Header=BB5_52 Depth=3
	v_cvt_f32_u32_e32 v3, s46
	s_sub_co_i32 s60, 0, s46
	s_delay_alu instid0(VALU_DEP_1) | instskip(SKIP_1) | instid1(TRANS32_DEP_1)
	v_rcp_iflag_f32_e32 v3, v3
	v_nop
	v_mul_f32_e32 v3, 0x4f7ffffe, v3
	s_delay_alu instid0(VALU_DEP_1) | instskip(NEXT) | instid1(VALU_DEP_1)
	v_cvt_u32_f32_e32 v3, v3
	v_mul_lo_u32 v32, s60, v3
	s_delay_alu instid0(VALU_DEP_1) | instskip(NEXT) | instid1(VALU_DEP_1)
	v_mul_hi_u32 v32, v3, v32
	v_add_nc_u32_e32 v3, v3, v32
	s_delay_alu instid0(VALU_DEP_1) | instskip(NEXT) | instid1(VALU_DEP_1)
	v_mul_hi_u32 v3, v26, v3
	v_mul_lo_u32 v32, v3, s46
	s_delay_alu instid0(VALU_DEP_1) | instskip(NEXT) | instid1(VALU_DEP_1)
	v_sub_nc_u32_e32 v32, v26, v32
	v_subrev_nc_u32_e32 v36, s46, v32
	v_cmp_le_u32_e32 vcc_lo, s46, v32
	s_delay_alu instid0(VALU_DEP_2) | instskip(NEXT) | instid1(VALU_DEP_1)
	v_dual_cndmask_b32 v32, v32, v36 :: v_dual_add_nc_u32 v33, 1, v3
	v_cndmask_b32_e32 v3, v3, v33, vcc_lo
	s_delay_alu instid0(VALU_DEP_2) | instskip(NEXT) | instid1(VALU_DEP_2)
	v_cmp_le_u32_e32 vcc_lo, s46, v32
	v_add_nc_u32_e32 v33, 1, v3
	s_delay_alu instid0(VALU_DEP_1)
	v_dual_cndmask_b32 v32, v3, v33 :: v_dual_mov_b32 v33, v2
.LBB5_57:                               ;   in Loop: Header=BB5_52 Depth=3
	s_or_b32 exec_lo, exec_lo, s2
	s_delay_alu instid0(VALU_DEP_1) | instskip(SKIP_1) | instid1(VALU_DEP_1)
	v_mul_u64_e32 v[36:37], s[46:47], v[32:33]
	s_mov_b32 s2, exec_lo
	v_sub_nc_u64_e32 v[36:37], v[26:27], v[36:37]
	s_delay_alu instid0(VALU_DEP_1)
	v_cmpx_eq_u64_e32 0, v[36:37]
	s_cbranch_execz .LBB5_50
; %bb.58:                               ;   in Loop: Header=BB5_52 Depth=3
	v_add_nc_u64_e32 v[32:33], v[24:25], v[32:33]
	s_delay_alu instid0(VALU_DEP_1) | instskip(NEXT) | instid1(VALU_DEP_1)
	v_mad_nc_u64_u32 v[36:37], v32, s48, v[18:19]
	v_mad_u32 v3, v33, s48, v37
	s_delay_alu instid0(VALU_DEP_2) | instskip(NEXT) | instid1(VALU_DEP_2)
	v_mad_nc_u64_u32 v[38:39], s54, v36, v[28:29]
	v_mad_u32 v3, v32, s49, v3
	s_delay_alu instid0(VALU_DEP_2) | instskip(NEXT) | instid1(VALU_DEP_1)
	v_mad_u32 v32, s55, v36, v39
	v_mad_u32 v39, s54, v3, v32
	global_load_u16 v3, v[38:39], off
	s_wait_loadcnt 0x0
	v_lshlrev_b32_e32 v3, 16, v3
	s_delay_alu instid0(VALU_DEP_1)
	v_add_f32_e32 v35, v35, v3
	s_branch .LBB5_50
.LBB5_59:
	s_endpgm
	.section	.rodata,"a",@progbits
	.p2align	6, 0x0
	.amdhsa_kernel _ZN2at6native21col2im_batched_kernelIN3c108BFloat16EEEvlPKT_llllllllllllllPS4_l
		.amdhsa_group_segment_fixed_size 0
		.amdhsa_private_segment_fixed_size 0
		.amdhsa_kernarg_size 400
		.amdhsa_user_sgpr_count 2
		.amdhsa_user_sgpr_dispatch_ptr 0
		.amdhsa_user_sgpr_queue_ptr 0
		.amdhsa_user_sgpr_kernarg_segment_ptr 1
		.amdhsa_user_sgpr_dispatch_id 0
		.amdhsa_user_sgpr_kernarg_preload_length 0
		.amdhsa_user_sgpr_kernarg_preload_offset 0
		.amdhsa_user_sgpr_private_segment_size 0
		.amdhsa_wavefront_size32 1
		.amdhsa_uses_dynamic_stack 0
		.amdhsa_enable_private_segment 0
		.amdhsa_system_sgpr_workgroup_id_x 1
		.amdhsa_system_sgpr_workgroup_id_y 0
		.amdhsa_system_sgpr_workgroup_id_z 0
		.amdhsa_system_sgpr_workgroup_info 0
		.amdhsa_system_vgpr_workitem_id 0
		.amdhsa_next_free_vgpr 48
		.amdhsa_next_free_sgpr 79
		.amdhsa_named_barrier_count 0
		.amdhsa_reserve_vcc 1
		.amdhsa_float_round_mode_32 0
		.amdhsa_float_round_mode_16_64 0
		.amdhsa_float_denorm_mode_32 3
		.amdhsa_float_denorm_mode_16_64 3
		.amdhsa_fp16_overflow 0
		.amdhsa_memory_ordered 1
		.amdhsa_forward_progress 1
		.amdhsa_inst_pref_size 65
		.amdhsa_round_robin_scheduling 0
		.amdhsa_exception_fp_ieee_invalid_op 0
		.amdhsa_exception_fp_denorm_src 0
		.amdhsa_exception_fp_ieee_div_zero 0
		.amdhsa_exception_fp_ieee_overflow 0
		.amdhsa_exception_fp_ieee_underflow 0
		.amdhsa_exception_fp_ieee_inexact 0
		.amdhsa_exception_int_div_zero 0
	.end_amdhsa_kernel
	.section	.text._ZN2at6native21col2im_batched_kernelIN3c108BFloat16EEEvlPKT_llllllllllllllPS4_l,"axG",@progbits,_ZN2at6native21col2im_batched_kernelIN3c108BFloat16EEEvlPKT_llllllllllllllPS4_l,comdat
.Lfunc_end5:
	.size	_ZN2at6native21col2im_batched_kernelIN3c108BFloat16EEEvlPKT_llllllllllllllPS4_l, .Lfunc_end5-_ZN2at6native21col2im_batched_kernelIN3c108BFloat16EEEvlPKT_llllllllllllllPS4_l
                                        ; -- End function
	.set _ZN2at6native21col2im_batched_kernelIN3c108BFloat16EEEvlPKT_llllllllllllllPS4_l.num_vgpr, 48
	.set _ZN2at6native21col2im_batched_kernelIN3c108BFloat16EEEvlPKT_llllllllllllllPS4_l.num_agpr, 0
	.set _ZN2at6native21col2im_batched_kernelIN3c108BFloat16EEEvlPKT_llllllllllllllPS4_l.numbered_sgpr, 79
	.set _ZN2at6native21col2im_batched_kernelIN3c108BFloat16EEEvlPKT_llllllllllllllPS4_l.num_named_barrier, 0
	.set _ZN2at6native21col2im_batched_kernelIN3c108BFloat16EEEvlPKT_llllllllllllllPS4_l.private_seg_size, 0
	.set _ZN2at6native21col2im_batched_kernelIN3c108BFloat16EEEvlPKT_llllllllllllllPS4_l.uses_vcc, 1
	.set _ZN2at6native21col2im_batched_kernelIN3c108BFloat16EEEvlPKT_llllllllllllllPS4_l.uses_flat_scratch, 0
	.set _ZN2at6native21col2im_batched_kernelIN3c108BFloat16EEEvlPKT_llllllllllllllPS4_l.has_dyn_sized_stack, 0
	.set _ZN2at6native21col2im_batched_kernelIN3c108BFloat16EEEvlPKT_llllllllllllllPS4_l.has_recursion, 0
	.set _ZN2at6native21col2im_batched_kernelIN3c108BFloat16EEEvlPKT_llllllllllllllPS4_l.has_indirect_call, 0
	.section	.AMDGPU.csdata,"",@progbits
; Kernel info:
; codeLenInByte = 8252
; TotalNumSgprs: 81
; NumVgprs: 48
; ScratchSize: 0
; MemoryBound: 0
; FloatMode: 240
; IeeeMode: 1
; LDSByteSize: 0 bytes/workgroup (compile time only)
; SGPRBlocks: 0
; VGPRBlocks: 2
; NumSGPRsForWavesPerEU: 81
; NumVGPRsForWavesPerEU: 48
; NamedBarCnt: 0
; Occupancy: 16
; WaveLimiterHint : 0
; COMPUTE_PGM_RSRC2:SCRATCH_EN: 0
; COMPUTE_PGM_RSRC2:USER_SGPR: 2
; COMPUTE_PGM_RSRC2:TRAP_HANDLER: 0
; COMPUTE_PGM_RSRC2:TGID_X_EN: 1
; COMPUTE_PGM_RSRC2:TGID_Y_EN: 0
; COMPUTE_PGM_RSRC2:TGID_Z_EN: 0
; COMPUTE_PGM_RSRC2:TIDIG_COMP_CNT: 0
	.section	.text._ZN2at6native21col2im_batched_kernelIbEEvlPKT_llllllllllllllPS2_l,"axG",@progbits,_ZN2at6native21col2im_batched_kernelIbEEvlPKT_llllllllllllllPS2_l,comdat
	.protected	_ZN2at6native21col2im_batched_kernelIbEEvlPKT_llllllllllllllPS2_l ; -- Begin function _ZN2at6native21col2im_batched_kernelIbEEvlPKT_llllllllllllllPS2_l
	.globl	_ZN2at6native21col2im_batched_kernelIbEEvlPKT_llllllllllllllPS2_l
	.p2align	8
	.type	_ZN2at6native21col2im_batched_kernelIbEEvlPKT_llllllllllllllPS2_l,@function
_ZN2at6native21col2im_batched_kernelIbEEvlPKT_llllllllllllllPS2_l: ; @_ZN2at6native21col2im_batched_kernelIbEEvlPKT_llllllllllllllPS2_l
; %bb.0:
	s_load_b32 s2, s[0:1], 0x9c
	s_bfe_u32 s20, ttmp6, 0x4000c
	s_load_b512 s[4:19], s[0:1], 0x0
	v_mov_b32_e32 v2, 0
	s_add_co_i32 s20, s20, 1
	s_and_b32 s3, ttmp6, 15
	s_mul_i32 s20, ttmp9, s20
	s_getreg_b32 s21, hwreg(HW_REG_IB_STS2, 6, 4)
	v_mov_b32_e32 v1, v2
	s_add_co_i32 s3, s3, s20
	s_mov_b32 s20, exec_lo
	s_wait_kmcnt 0x0
	s_and_b32 s2, s2, 0xffff
	s_cmp_eq_u32 s21, 0
	s_mul_u64 s[10:11], s[10:11], s[4:5]
	s_cselect_b32 s3, ttmp9, s3
	s_delay_alu instid0(SALU_CYCLE_1) | instskip(SKIP_1) | instid1(VALU_DEP_1)
	v_mad_nc_u64_u32 v[0:1], s2, s3, v[0:1]
	s_mov_b32 s3, 0
	v_cmpx_gt_i64_e64 s[10:11], v[0:1]
	s_cbranch_execz .LBB6_59
; %bb.1:
	s_load_b512 s[36:51], s[0:1], 0x40
	s_add_nc_u64 s[24:25], s[0:1], 0x90
	v_cvt_f32_u32_e32 v3, s4
	s_load_b32 s26, s[24:25], 0x0
	s_load_b128 s[20:23], s[0:1], 0x80
	s_wait_xcnt 0x0
	s_add_nc_u64 s[0:1], s[18:19], -1
	s_add_nc_u64 s[34:35], s[16:17], -1
	s_mul_u64 s[24:25], s[14:15], s[12:13]
	v_rcp_iflag_f32_e32 v3, v3
	s_mov_b32 s27, s3
	s_mov_b64 s[28:29], 0xffffffff
	s_ashr_i32 s30, s5, 31
	s_mov_b32 s33, 0
	v_nop
	s_delay_alu instid0(TRANS32_DEP_1) | instskip(NEXT) | instid1(VALU_DEP_1)
	v_mul_f32_e32 v3, 0x4f7ffffe, v3
	v_cvt_u32_f32_e32 v32, v3
	s_wait_kmcnt 0x0
	s_mul_u64 s[34:35], s[44:45], s[34:35]
	s_mul_u64 s[52:53], s[46:47], s[0:1]
	s_not_b64 s[54:55], s[34:35]
	s_not_b64 s[56:57], s[52:53]
	s_mul_i32 s26, s26, s2
	s_branch .LBB6_4
.LBB6_2:                                ;   in Loop: Header=BB6_4 Depth=1
	s_or_b32 exec_lo, exec_lo, s62
	s_delay_alu instid0(SALU_CYCLE_1)
	s_and_b32 s0, s63, exec_lo
.LBB6_3:                                ;   in Loop: Header=BB6_4 Depth=1
	s_or_b32 exec_lo, exec_lo, s31
	v_mad_nc_u64_u32 v[8:9], v4, s22, s[20:21]
	v_add_nc_u64_e32 v[0:1], s[26:27], v[0:1]
	s_delay_alu instid0(VALU_DEP_1) | instskip(NEXT) | instid1(VALU_DEP_3)
	v_cmp_le_i64_e32 vcc_lo, s[10:11], v[0:1]
	v_mad_u32 v3, v5, s22, v9
	s_or_b32 s33, vcc_lo, s33
	s_delay_alu instid0(VALU_DEP_1) | instskip(SKIP_1) | instid1(VALU_DEP_2)
	v_mad_u32 v9, v4, s23, v3
	v_cndmask_b32_e64 v3, 0, 1, s0
	v_add_nc_u64_e32 v[4:5], v[8:9], v[6:7]
	global_store_b8 v[4:5], v3, off
	s_wait_xcnt 0x0
	s_and_not1_b32 exec_lo, exec_lo, s33
	s_cbranch_execz .LBB6_59
.LBB6_4:                                ; =>This Loop Header: Depth=1
                                        ;     Child Loop BB6_44 Depth 2
                                        ;       Child Loop BB6_52 Depth 3
	v_or_b32_e32 v3, s5, v1
                                        ; implicit-def: $vgpr4_vgpr5
	s_mov_b32 s0, exec_lo
	s_delay_alu instid0(VALU_DEP_1)
	v_cmpx_ne_u64_e32 0, v[2:3]
	s_xor_b32 s1, exec_lo, s0
	s_cbranch_execz .LBB6_6
; %bb.5:                                ;   in Loop: Header=BB6_4 Depth=1
	s_mov_b32 s31, s30
	v_dual_mov_b32 v9, v2 :: v_dual_ashrrev_i32 v4, 31, v1
	s_add_nc_u64 s[58:59], s[4:5], s[30:31]
	s_delay_alu instid0(SALU_CYCLE_1) | instskip(NEXT) | instid1(VALU_DEP_1)
	s_xor_b64 s[58:59], s[58:59], s[30:31]
	v_mov_b32_e32 v5, v4
	s_cvt_f32_u32 s0, s58
	s_cvt_f32_u32 s2, s59
	s_sub_nc_u64 s[62:63], 0, s[58:59]
	s_delay_alu instid0(VALU_DEP_1) | instskip(NEXT) | instid1(SALU_CYCLE_1)
	v_add_nc_u64_e32 v[6:7], v[0:1], v[4:5]
	s_fmamk_f32 s0, s2, 0x4f800000, s0
	v_mov_b32_e32 v13, v2
	s_delay_alu instid0(SALU_CYCLE_2) | instskip(NEXT) | instid1(VALU_DEP_2)
	v_s_rcp_f32 s0, s0
	v_xor_b32_e32 v8, v6, v4
	s_delay_alu instid0(VALU_DEP_3) | instskip(SKIP_1) | instid1(TRANS32_DEP_1)
	v_dual_mov_b32 v17, v2 :: v_dual_bitop2_b32 v12, v7, v4 bitop3:0x14
	v_xor_b32_e32 v4, s30, v4
	s_mul_f32 s0, s0, 0x5f7ffffc
	s_delay_alu instid0(SALU_CYCLE_3) | instskip(NEXT) | instid1(SALU_CYCLE_3)
	s_mul_f32 s2, s0, 0x2f800000
	s_trunc_f32 s2, s2
	s_delay_alu instid0(SALU_CYCLE_3) | instskip(SKIP_1) | instid1(SALU_CYCLE_2)
	s_fmamk_f32 s0, s2, 0xcf800000, s0
	s_cvt_u32_f32 s61, s2
	s_cvt_u32_f32 s60, s0
	s_delay_alu instid0(SALU_CYCLE_3) | instskip(NEXT) | instid1(SALU_CYCLE_1)
	s_mul_u64 s[64:65], s[62:63], s[60:61]
	s_mul_hi_u32 s67, s60, s65
	s_mul_i32 s66, s60, s65
	s_mul_hi_u32 s2, s60, s64
	s_mul_i32 s31, s61, s64
	s_add_nc_u64 s[66:67], s[2:3], s[66:67]
	s_mul_hi_u32 s0, s61, s64
	s_mul_hi_u32 s68, s61, s65
	s_add_co_u32 s2, s66, s31
	s_add_co_ci_u32 s2, s67, s0
	s_mul_i32 s64, s61, s65
	s_add_co_ci_u32 s65, s68, 0
	s_delay_alu instid0(SALU_CYCLE_1) | instskip(NEXT) | instid1(SALU_CYCLE_1)
	s_add_nc_u64 s[64:65], s[2:3], s[64:65]
	s_add_co_u32 s60, s60, s64
	s_cselect_b32 s0, -1, 0
	s_delay_alu instid0(SALU_CYCLE_1) | instskip(SKIP_1) | instid1(SALU_CYCLE_1)
	s_cmp_lg_u32 s0, 0
	s_add_co_ci_u32 s61, s61, s65
	s_mul_u64 s[62:63], s[62:63], s[60:61]
	s_delay_alu instid0(SALU_CYCLE_1)
	s_mul_hi_u32 s65, s60, s63
	s_mul_i32 s64, s60, s63
	s_mul_hi_u32 s2, s60, s62
	s_mul_i32 s31, s61, s62
	s_add_nc_u64 s[64:65], s[2:3], s[64:65]
	s_mul_hi_u32 s0, s61, s62
	s_mul_hi_u32 s66, s61, s63
	s_add_co_u32 s2, s64, s31
	s_add_co_ci_u32 s2, s65, s0
	s_mul_i32 s62, s61, s63
	s_add_co_ci_u32 s63, s66, 0
	s_delay_alu instid0(SALU_CYCLE_1) | instskip(NEXT) | instid1(SALU_CYCLE_1)
	s_add_nc_u64 s[62:63], s[2:3], s[62:63]
	s_add_co_u32 s0, s60, s62
	s_cselect_b32 s2, -1, 0
	v_mul_hi_u32 v16, v8, s0
	s_cmp_lg_u32 s2, 0
	s_add_co_ci_u32 s2, s61, s63
	s_and_b64 s[60:61], s[0:1], s[28:29]
	v_mul_u64_e32 v[10:11], s[2:3], v[8:9]
	v_mul_u64_e32 v[6:7], s[60:61], v[12:13]
	;; [unrolled: 1-line block ×3, first 2 shown]
	s_delay_alu instid0(VALU_DEP_3) | instskip(NEXT) | instid1(VALU_DEP_1)
	v_add_nc_u64_e32 v[10:11], v[16:17], v[10:11]
	v_add_co_u32 v3, vcc_lo, v10, v6
	s_delay_alu instid0(VALU_DEP_2) | instskip(NEXT) | instid1(VALU_DEP_4)
	v_add_co_ci_u32_e32 v16, vcc_lo, v11, v7, vcc_lo
	v_add_co_ci_u32_e32 v15, vcc_lo, 0, v15, vcc_lo
	s_delay_alu instid0(VALU_DEP_1) | instskip(NEXT) | instid1(VALU_DEP_1)
	v_add_nc_u64_e32 v[6:7], v[16:17], v[14:15]
	v_mul_u64_e32 v[10:11], s[58:59], v[6:7]
	s_delay_alu instid0(VALU_DEP_1) | instskip(NEXT) | instid1(VALU_DEP_2)
	v_sub_nc_u32_e32 v3, v12, v11
	v_sub_co_u32 v5, vcc_lo, v8, v10
	s_delay_alu instid0(VALU_DEP_1) | instskip(NEXT) | instid1(VALU_DEP_3)
	v_sub_co_ci_u32_e64 v12, null, v12, v11, vcc_lo
	v_subrev_co_ci_u32_e64 v3, null, s59, v3, vcc_lo
	s_delay_alu instid0(VALU_DEP_3) | instskip(SKIP_1) | instid1(VALU_DEP_3)
	v_sub_co_u32 v8, s0, v5, s58
	v_add_nc_u64_e32 v[10:11], 1, v[6:7]
	v_subrev_co_ci_u32_e64 v3, null, 0, v3, s0
	s_delay_alu instid0(VALU_DEP_3) | instskip(SKIP_1) | instid1(VALU_DEP_3)
	v_cmp_le_u32_e32 vcc_lo, s58, v8
	v_cndmask_b32_e64 v8, 0, -1, vcc_lo
	v_cmp_le_u32_e32 vcc_lo, s59, v3
	v_cndmask_b32_e64 v9, 0, -1, vcc_lo
	;; [unrolled: 2-line block ×4, first 2 shown]
	v_cmp_eq_u32_e32 vcc_lo, s59, v3
	v_cndmask_b32_e32 v3, v9, v8, vcc_lo
	v_cmp_eq_u32_e32 vcc_lo, s59, v12
	v_add_nc_u64_e32 v[8:9], 2, v[6:7]
	v_cndmask_b32_e32 v5, v13, v5, vcc_lo
	s_delay_alu instid0(VALU_DEP_4) | instskip(NEXT) | instid1(VALU_DEP_2)
	v_cmp_ne_u32_e32 vcc_lo, 0, v3
	v_cmp_ne_u32_e64 s0, 0, v5
	s_delay_alu instid0(VALU_DEP_4) | instskip(NEXT) | instid1(VALU_DEP_1)
	v_dual_cndmask_b32 v3, v11, v9, vcc_lo :: v_dual_cndmask_b32 v5, v10, v8, vcc_lo
	v_dual_cndmask_b32 v6, v6, v5, s0 :: v_dual_mov_b32 v5, v4
	s_delay_alu instid0(VALU_DEP_1) | instskip(NEXT) | instid1(VALU_DEP_1)
	v_dual_cndmask_b32 v3, v7, v3, s0 :: v_dual_bitop2_b32 v6, v6, v4 bitop3:0x14
	v_xor_b32_e32 v7, v3, v4
	s_delay_alu instid0(VALU_DEP_1)
	v_sub_nc_u64_e32 v[4:5], v[6:7], v[4:5]
.LBB6_6:                                ;   in Loop: Header=BB6_4 Depth=1
	s_and_not1_saveexec_b32 s0, s1
	s_cbranch_execz .LBB6_8
; %bb.7:                                ;   in Loop: Header=BB6_4 Depth=1
	s_sub_co_i32 s1, 0, s4
	s_delay_alu instid0(SALU_CYCLE_1) | instskip(NEXT) | instid1(VALU_DEP_1)
	v_mul_lo_u32 v3, s1, v32
	v_mul_hi_u32 v3, v32, v3
	s_delay_alu instid0(VALU_DEP_1) | instskip(NEXT) | instid1(VALU_DEP_1)
	v_add_nc_u32_e32 v3, v32, v3
	v_mul_hi_u32 v3, v0, v3
	s_delay_alu instid0(VALU_DEP_1) | instskip(NEXT) | instid1(VALU_DEP_1)
	v_mul_lo_u32 v4, v3, s4
	v_dual_add_nc_u32 v5, 1, v3 :: v_dual_sub_nc_u32 v4, v0, v4
	s_delay_alu instid0(VALU_DEP_1) | instskip(SKIP_1) | instid1(VALU_DEP_2)
	v_subrev_nc_u32_e32 v6, s4, v4
	v_cmp_le_u32_e32 vcc_lo, s4, v4
	v_dual_cndmask_b32 v4, v4, v6 :: v_dual_cndmask_b32 v3, v3, v5
	s_delay_alu instid0(VALU_DEP_1) | instskip(NEXT) | instid1(VALU_DEP_2)
	v_cmp_le_u32_e32 vcc_lo, s4, v4
	v_add_nc_u32_e32 v5, 1, v3
	s_delay_alu instid0(VALU_DEP_1)
	v_dual_cndmask_b32 v4, v3, v5 :: v_dual_mov_b32 v5, v2
.LBB6_8:                                ;   in Loop: Header=BB6_4 Depth=1
	s_or_b32 exec_lo, exec_lo, s0
	s_delay_alu instid0(VALU_DEP_1) | instskip(SKIP_1) | instid1(VALU_DEP_1)
	v_mul_u64_e32 v[8:9], s[4:5], v[4:5]
                                        ; implicit-def: $vgpr16_vgpr17
	s_mov_b32 s0, exec_lo
	v_sub_nc_u64_e32 v[6:7], v[0:1], v[8:9]
	s_delay_alu instid0(VALU_DEP_1) | instskip(NEXT) | instid1(VALU_DEP_1)
	v_dual_ashrrev_i32 v10, 31, v7 :: v_dual_bitop2_b32 v3, s15, v7 bitop3:0x54
	v_cmpx_ne_u64_e32 0, v[2:3]
	s_xor_b32 s1, exec_lo, s0
	s_cbranch_execz .LBB6_10
; %bb.9:                                ;   in Loop: Header=BB6_4 Depth=1
	s_ashr_i32 s58, s15, 31
	v_dual_mov_b32 v11, v10 :: v_dual_mov_b32 v15, v2
	s_mov_b32 s59, s58
	v_mov_b32_e32 v19, v2
	s_add_nc_u64 s[60:61], s[14:15], s[58:59]
	s_delay_alu instid0(VALU_DEP_2)
	v_add_nc_u64_e32 v[12:13], v[6:7], v[10:11]
	s_xor_b64 s[60:61], s[60:61], s[58:59]
	v_mov_b32_e32 v23, v2
	s_cvt_f32_u32 s0, s60
	s_cvt_f32_u32 s2, s61
	s_sub_nc_u64 s[64:65], 0, s[60:61]
	s_delay_alu instid0(VALU_DEP_2) | instskip(NEXT) | instid1(SALU_CYCLE_1)
	v_xor_b32_e32 v14, v12, v10
	s_fmamk_f32 s0, s2, 0x4f800000, s0
	v_xor_b32_e32 v18, v13, v10
	s_delay_alu instid0(SALU_CYCLE_2) | instskip(NEXT) | instid1(TRANS32_DEP_1)
	v_s_rcp_f32 s0, s0
	s_mul_f32 s0, s0, 0x5f7ffffc
	s_delay_alu instid0(SALU_CYCLE_3) | instskip(NEXT) | instid1(SALU_CYCLE_3)
	s_mul_f32 s2, s0, 0x2f800000
	s_trunc_f32 s2, s2
	s_delay_alu instid0(SALU_CYCLE_3) | instskip(SKIP_1) | instid1(SALU_CYCLE_2)
	s_fmamk_f32 s0, s2, 0xcf800000, s0
	s_cvt_u32_f32 s63, s2
	s_cvt_u32_f32 s62, s0
	s_delay_alu instid0(SALU_CYCLE_3) | instskip(NEXT) | instid1(SALU_CYCLE_1)
	s_mul_u64 s[66:67], s[64:65], s[62:63]
	s_mul_hi_u32 s69, s62, s67
	s_mul_i32 s68, s62, s67
	s_mul_hi_u32 s2, s62, s66
	s_mul_i32 s31, s63, s66
	s_add_nc_u64 s[68:69], s[2:3], s[68:69]
	s_mul_hi_u32 s0, s63, s66
	s_mul_hi_u32 s59, s63, s67
	s_add_co_u32 s2, s68, s31
	s_add_co_ci_u32 s2, s69, s0
	s_mul_i32 s66, s63, s67
	s_add_co_ci_u32 s67, s59, 0
	s_delay_alu instid0(SALU_CYCLE_1) | instskip(NEXT) | instid1(SALU_CYCLE_1)
	s_add_nc_u64 s[66:67], s[2:3], s[66:67]
	s_add_co_u32 s62, s62, s66
	s_cselect_b32 s0, -1, 0
	s_delay_alu instid0(SALU_CYCLE_1) | instskip(SKIP_1) | instid1(SALU_CYCLE_1)
	s_cmp_lg_u32 s0, 0
	s_add_co_ci_u32 s63, s63, s67
	s_mul_u64 s[64:65], s[64:65], s[62:63]
	s_delay_alu instid0(SALU_CYCLE_1)
	s_mul_hi_u32 s67, s62, s65
	s_mul_i32 s66, s62, s65
	s_mul_hi_u32 s2, s62, s64
	s_mul_i32 s31, s63, s64
	s_add_nc_u64 s[66:67], s[2:3], s[66:67]
	s_mul_hi_u32 s0, s63, s64
	s_mul_hi_u32 s59, s63, s65
	s_add_co_u32 s2, s66, s31
	s_add_co_ci_u32 s2, s67, s0
	s_mul_i32 s64, s63, s65
	s_add_co_ci_u32 s65, s59, 0
	s_delay_alu instid0(SALU_CYCLE_1) | instskip(NEXT) | instid1(SALU_CYCLE_1)
	s_add_nc_u64 s[64:65], s[2:3], s[64:65]
	s_add_co_u32 s0, s62, s64
	s_cselect_b32 s2, -1, 0
	v_nop
	v_mul_hi_u32 v22, v14, s0
	s_cmp_lg_u32 s2, 0
	s_add_co_ci_u32 s2, s63, s65
	s_and_b64 s[62:63], s[0:1], s[28:29]
	v_mul_u64_e32 v[16:17], s[2:3], v[14:15]
	v_mul_u64_e32 v[12:13], s[62:63], v[18:19]
	;; [unrolled: 1-line block ×3, first 2 shown]
	s_delay_alu instid0(VALU_DEP_3) | instskip(NEXT) | instid1(VALU_DEP_1)
	v_add_nc_u64_e32 v[16:17], v[22:23], v[16:17]
	v_add_co_u32 v3, vcc_lo, v16, v12
	s_delay_alu instid0(VALU_DEP_2) | instskip(NEXT) | instid1(VALU_DEP_4)
	v_add_co_ci_u32_e32 v22, vcc_lo, v17, v13, vcc_lo
	v_add_co_ci_u32_e32 v21, vcc_lo, 0, v21, vcc_lo
	s_delay_alu instid0(VALU_DEP_1) | instskip(NEXT) | instid1(VALU_DEP_1)
	v_add_nc_u64_e32 v[12:13], v[22:23], v[20:21]
	v_mul_u64_e32 v[16:17], s[60:61], v[12:13]
	s_delay_alu instid0(VALU_DEP_1) | instskip(NEXT) | instid1(VALU_DEP_2)
	v_sub_nc_u32_e32 v3, v18, v17
	v_sub_co_u32 v11, vcc_lo, v14, v16
	s_delay_alu instid0(VALU_DEP_1) | instskip(NEXT) | instid1(VALU_DEP_3)
	v_sub_co_ci_u32_e64 v18, null, v18, v17, vcc_lo
	v_subrev_co_ci_u32_e64 v3, null, s61, v3, vcc_lo
	s_delay_alu instid0(VALU_DEP_3) | instskip(SKIP_1) | instid1(VALU_DEP_3)
	v_sub_co_u32 v14, s0, v11, s60
	v_add_nc_u64_e32 v[16:17], 1, v[12:13]
	v_subrev_co_ci_u32_e64 v3, null, 0, v3, s0
	s_delay_alu instid0(VALU_DEP_3) | instskip(SKIP_1) | instid1(VALU_DEP_3)
	v_cmp_le_u32_e32 vcc_lo, s60, v14
	v_cndmask_b32_e64 v14, 0, -1, vcc_lo
	v_cmp_le_u32_e32 vcc_lo, s61, v3
	v_cndmask_b32_e64 v15, 0, -1, vcc_lo
	;; [unrolled: 2-line block ×4, first 2 shown]
	v_cmp_eq_u32_e32 vcc_lo, s61, v3
	v_cndmask_b32_e32 v3, v15, v14, vcc_lo
	v_cmp_eq_u32_e32 vcc_lo, s61, v18
	v_add_nc_u64_e32 v[14:15], 2, v[12:13]
	v_cndmask_b32_e32 v11, v19, v11, vcc_lo
	s_delay_alu instid0(VALU_DEP_4) | instskip(NEXT) | instid1(VALU_DEP_2)
	v_cmp_ne_u32_e32 vcc_lo, 0, v3
	v_cmp_ne_u32_e64 s0, 0, v11
	s_delay_alu instid0(VALU_DEP_4) | instskip(NEXT) | instid1(VALU_DEP_1)
	v_dual_cndmask_b32 v3, v17, v15, vcc_lo :: v_dual_cndmask_b32 v11, v16, v14, vcc_lo
	v_dual_cndmask_b32 v3, v13, v3, s0 :: v_dual_bitop2_b32 v14, s58, v10 bitop3:0x14
	s_delay_alu instid0(VALU_DEP_1) | instskip(NEXT) | instid1(VALU_DEP_2)
	v_dual_mov_b32 v15, v14 :: v_dual_cndmask_b32 v11, v12, v11, s0
	v_xor_b32_e32 v13, v3, v14
	s_delay_alu instid0(VALU_DEP_2) | instskip(NEXT) | instid1(VALU_DEP_1)
	v_xor_b32_e32 v12, v11, v14
	v_sub_nc_u64_e32 v[16:17], v[12:13], v[14:15]
.LBB6_10:                               ;   in Loop: Header=BB6_4 Depth=1
	s_and_not1_saveexec_b32 s0, s1
	s_cbranch_execz .LBB6_12
; %bb.11:                               ;   in Loop: Header=BB6_4 Depth=1
	v_cvt_f32_u32_e32 v3, s14
	s_sub_co_i32 s1, 0, s14
	v_mov_b32_e32 v17, v2
	s_delay_alu instid0(VALU_DEP_2) | instskip(SKIP_1) | instid1(TRANS32_DEP_1)
	v_rcp_iflag_f32_e32 v3, v3
	v_nop
	v_mul_f32_e32 v3, 0x4f7ffffe, v3
	s_delay_alu instid0(VALU_DEP_1) | instskip(NEXT) | instid1(VALU_DEP_1)
	v_cvt_u32_f32_e32 v3, v3
	v_mul_lo_u32 v11, s1, v3
	s_delay_alu instid0(VALU_DEP_1) | instskip(NEXT) | instid1(VALU_DEP_1)
	v_mul_hi_u32 v11, v3, v11
	v_add_nc_u32_e32 v3, v3, v11
	s_delay_alu instid0(VALU_DEP_1) | instskip(NEXT) | instid1(VALU_DEP_1)
	v_mul_hi_u32 v3, v6, v3
	v_mul_lo_u32 v11, v3, s14
	s_delay_alu instid0(VALU_DEP_1) | instskip(NEXT) | instid1(VALU_DEP_1)
	v_sub_nc_u32_e32 v11, v6, v11
	v_subrev_nc_u32_e32 v13, s14, v11
	v_cmp_le_u32_e32 vcc_lo, s14, v11
	s_delay_alu instid0(VALU_DEP_2) | instskip(NEXT) | instid1(VALU_DEP_1)
	v_dual_cndmask_b32 v11, v11, v13 :: v_dual_add_nc_u32 v12, 1, v3
	v_cndmask_b32_e32 v3, v3, v12, vcc_lo
	s_delay_alu instid0(VALU_DEP_2) | instskip(NEXT) | instid1(VALU_DEP_2)
	v_cmp_le_u32_e32 vcc_lo, s14, v11
	v_add_nc_u32_e32 v12, 1, v3
	s_delay_alu instid0(VALU_DEP_1)
	v_cndmask_b32_e32 v16, v3, v12, vcc_lo
.LBB6_12:                               ;   in Loop: Header=BB6_4 Depth=1
	s_or_b32 exec_lo, exec_lo, s0
	s_delay_alu instid0(VALU_DEP_1) | instskip(SKIP_1) | instid1(VALU_DEP_1)
	v_or_b32_e32 v3, s13, v17
                                        ; implicit-def: $vgpr12_vgpr13
	s_mov_b32 s0, exec_lo
	v_cmpx_ne_u64_e32 0, v[2:3]
	s_xor_b32 s1, exec_lo, s0
	s_cbranch_execz .LBB6_14
; %bb.13:                               ;   in Loop: Header=BB6_4 Depth=1
	s_ashr_i32 s58, s13, 31
	v_dual_mov_b32 v19, v2 :: v_dual_ashrrev_i32 v12, 31, v17
	s_mov_b32 s59, s58
	v_mov_b32_e32 v27, v2
	s_add_nc_u64 s[60:61], s[12:13], s[58:59]
	s_delay_alu instid0(VALU_DEP_2) | instskip(SKIP_1) | instid1(SALU_CYCLE_1)
	v_mov_b32_e32 v13, v12
	s_xor_b64 s[58:59], s[60:61], s[58:59]
	s_cvt_f32_u32 s0, s58
	s_cvt_f32_u32 s2, s59
	s_sub_nc_u64 s[62:63], 0, s[58:59]
	v_add_nc_u64_e32 v[14:15], v[16:17], v[12:13]
	v_mov_b32_e32 v23, v2
	s_fmamk_f32 s0, s2, 0x4f800000, s0
	s_delay_alu instid0(SALU_CYCLE_3) | instskip(NEXT) | instid1(VALU_DEP_2)
	v_s_rcp_f32 s0, s0
	v_xor_b32_e32 v18, v14, v12
	s_delay_alu instid0(VALU_DEP_3) | instskip(NEXT) | instid1(TRANS32_DEP_1)
	v_xor_b32_e32 v22, v15, v12
	s_mul_f32 s0, s0, 0x5f7ffffc
	s_delay_alu instid0(SALU_CYCLE_3) | instskip(NEXT) | instid1(SALU_CYCLE_3)
	s_mul_f32 s2, s0, 0x2f800000
	s_trunc_f32 s2, s2
	s_delay_alu instid0(SALU_CYCLE_3) | instskip(SKIP_1) | instid1(SALU_CYCLE_2)
	s_fmamk_f32 s0, s2, 0xcf800000, s0
	s_cvt_u32_f32 s61, s2
	s_cvt_u32_f32 s60, s0
	s_delay_alu instid0(SALU_CYCLE_3) | instskip(NEXT) | instid1(SALU_CYCLE_1)
	s_mul_u64 s[64:65], s[62:63], s[60:61]
	s_mul_hi_u32 s67, s60, s65
	s_mul_i32 s66, s60, s65
	s_mul_hi_u32 s2, s60, s64
	s_mul_i32 s31, s61, s64
	s_add_nc_u64 s[66:67], s[2:3], s[66:67]
	s_mul_hi_u32 s0, s61, s64
	s_mul_hi_u32 s68, s61, s65
	s_add_co_u32 s2, s66, s31
	s_add_co_ci_u32 s2, s67, s0
	s_mul_i32 s64, s61, s65
	s_add_co_ci_u32 s65, s68, 0
	s_delay_alu instid0(SALU_CYCLE_1) | instskip(NEXT) | instid1(SALU_CYCLE_1)
	s_add_nc_u64 s[64:65], s[2:3], s[64:65]
	s_add_co_u32 s60, s60, s64
	s_cselect_b32 s0, -1, 0
	s_delay_alu instid0(SALU_CYCLE_1) | instskip(SKIP_1) | instid1(SALU_CYCLE_1)
	s_cmp_lg_u32 s0, 0
	s_add_co_ci_u32 s61, s61, s65
	s_mul_u64 s[62:63], s[62:63], s[60:61]
	s_delay_alu instid0(SALU_CYCLE_1)
	s_mul_hi_u32 s65, s60, s63
	s_mul_i32 s64, s60, s63
	s_mul_hi_u32 s2, s60, s62
	s_mul_i32 s31, s61, s62
	s_add_nc_u64 s[64:65], s[2:3], s[64:65]
	s_mul_hi_u32 s0, s61, s62
	s_mul_hi_u32 s66, s61, s63
	s_add_co_u32 s2, s64, s31
	s_add_co_ci_u32 s2, s65, s0
	s_mul_i32 s62, s61, s63
	s_add_co_ci_u32 s63, s66, 0
	s_delay_alu instid0(SALU_CYCLE_1) | instskip(NEXT) | instid1(SALU_CYCLE_1)
	s_add_nc_u64 s[62:63], s[2:3], s[62:63]
	s_add_co_u32 s0, s60, s62
	s_cselect_b32 s2, -1, 0
	v_mul_hi_u32 v26, v18, s0
	s_cmp_lg_u32 s2, 0
	s_add_co_ci_u32 s2, s61, s63
	s_and_b64 s[60:61], s[0:1], s[28:29]
	v_mul_u64_e32 v[20:21], s[2:3], v[18:19]
	v_mul_u64_e32 v[14:15], s[60:61], v[22:23]
	;; [unrolled: 1-line block ×3, first 2 shown]
	s_delay_alu instid0(VALU_DEP_3) | instskip(NEXT) | instid1(VALU_DEP_1)
	v_add_nc_u64_e32 v[20:21], v[26:27], v[20:21]
	v_add_co_u32 v3, vcc_lo, v20, v14
	s_delay_alu instid0(VALU_DEP_2) | instskip(NEXT) | instid1(VALU_DEP_4)
	v_add_co_ci_u32_e32 v26, vcc_lo, v21, v15, vcc_lo
	v_add_co_ci_u32_e32 v25, vcc_lo, 0, v25, vcc_lo
	s_delay_alu instid0(VALU_DEP_1) | instskip(NEXT) | instid1(VALU_DEP_1)
	v_add_nc_u64_e32 v[14:15], v[26:27], v[24:25]
	v_mul_u64_e32 v[14:15], s[58:59], v[14:15]
	s_delay_alu instid0(VALU_DEP_1) | instskip(NEXT) | instid1(VALU_DEP_2)
	v_sub_nc_u32_e32 v3, v22, v15
	v_sub_co_u32 v11, vcc_lo, v18, v14
	s_delay_alu instid0(VALU_DEP_1) | instskip(NEXT) | instid1(VALU_DEP_3)
	v_sub_co_ci_u32_e64 v14, null, v22, v15, vcc_lo
	v_subrev_co_ci_u32_e64 v3, null, s59, v3, vcc_lo
	s_delay_alu instid0(VALU_DEP_3) | instskip(SKIP_1) | instid1(VALU_DEP_3)
	v_sub_co_u32 v15, vcc_lo, v11, s58
	v_cmp_le_u32_e64 s0, s58, v11
	v_subrev_co_ci_u32_e64 v18, null, 0, v3, vcc_lo
	v_subrev_co_ci_u32_e64 v3, null, s59, v3, vcc_lo
	s_delay_alu instid0(VALU_DEP_3) | instskip(SKIP_2) | instid1(VALU_DEP_2)
	v_cndmask_b32_e64 v19, 0, -1, s0
	v_cmp_le_u32_e64 s0, s58, v15
	v_cmp_le_u32_e32 vcc_lo, s59, v14
	v_cndmask_b32_e64 v20, 0, -1, s0
	v_cmp_le_u32_e64 s0, s59, v18
	v_cndmask_b32_e64 v22, 0, -1, vcc_lo
	v_cmp_eq_u32_e32 vcc_lo, s59, v18
	s_delay_alu instid0(VALU_DEP_3) | instskip(SKIP_1) | instid1(VALU_DEP_2)
	v_cndmask_b32_e64 v21, 0, -1, s0
	v_cmp_eq_u32_e64 s0, s59, v14
	v_cndmask_b32_e32 v20, v21, v20, vcc_lo
	v_sub_co_u32 v21, vcc_lo, v15, s58
	s_delay_alu instid0(VALU_DEP_1) | instskip(NEXT) | instid1(VALU_DEP_3)
	v_subrev_co_ci_u32_e64 v3, null, 0, v3, vcc_lo
	v_cmp_ne_u32_e32 vcc_lo, 0, v20
	v_cndmask_b32_e64 v19, v22, v19, s0
	s_delay_alu instid0(VALU_DEP_3) | instskip(NEXT) | instid1(VALU_DEP_2)
	v_dual_cndmask_b32 v3, v18, v3, vcc_lo :: v_dual_cndmask_b32 v15, v15, v21, vcc_lo
	v_cmp_ne_u32_e32 vcc_lo, 0, v19
	s_delay_alu instid0(VALU_DEP_2) | instskip(NEXT) | instid1(VALU_DEP_3)
	v_cndmask_b32_e32 v3, v14, v3, vcc_lo
	v_cndmask_b32_e32 v11, v11, v15, vcc_lo
	s_delay_alu instid0(VALU_DEP_2) | instskip(NEXT) | instid1(VALU_DEP_2)
	v_xor_b32_e32 v15, v3, v12
	v_xor_b32_e32 v14, v11, v12
	s_delay_alu instid0(VALU_DEP_1)
	v_sub_nc_u64_e32 v[12:13], v[14:15], v[12:13]
.LBB6_14:                               ;   in Loop: Header=BB6_4 Depth=1
	s_and_not1_saveexec_b32 s0, s1
	s_cbranch_execz .LBB6_16
; %bb.15:                               ;   in Loop: Header=BB6_4 Depth=1
	v_cvt_f32_u32_e32 v3, s12
	s_sub_co_i32 s1, 0, s12
	v_mov_b32_e32 v13, v2
	s_delay_alu instid0(VALU_DEP_2) | instskip(SKIP_1) | instid1(TRANS32_DEP_1)
	v_rcp_iflag_f32_e32 v3, v3
	v_nop
	v_mul_f32_e32 v3, 0x4f7ffffe, v3
	s_delay_alu instid0(VALU_DEP_1) | instskip(NEXT) | instid1(VALU_DEP_1)
	v_cvt_u32_f32_e32 v3, v3
	v_mul_lo_u32 v11, s1, v3
	s_delay_alu instid0(VALU_DEP_1) | instskip(NEXT) | instid1(VALU_DEP_1)
	v_mul_hi_u32 v11, v3, v11
	v_add_nc_u32_e32 v3, v3, v11
	s_delay_alu instid0(VALU_DEP_1) | instskip(NEXT) | instid1(VALU_DEP_1)
	v_mul_hi_u32 v3, v16, v3
	v_mul_lo_u32 v3, v3, s12
	s_delay_alu instid0(VALU_DEP_1) | instskip(NEXT) | instid1(VALU_DEP_1)
	v_sub_nc_u32_e32 v3, v16, v3
	v_subrev_nc_u32_e32 v11, s12, v3
	v_cmp_le_u32_e32 vcc_lo, s12, v3
	s_delay_alu instid0(VALU_DEP_2) | instskip(NEXT) | instid1(VALU_DEP_1)
	v_cndmask_b32_e32 v3, v3, v11, vcc_lo
	v_subrev_nc_u32_e32 v11, s12, v3
	v_cmp_le_u32_e32 vcc_lo, s12, v3
	s_delay_alu instid0(VALU_DEP_2)
	v_cndmask_b32_e32 v12, v3, v11, vcc_lo
.LBB6_16:                               ;   in Loop: Header=BB6_4 Depth=1
	s_or_b32 exec_lo, exec_lo, s0
	v_or_b32_e32 v3, s25, v7
                                        ; implicit-def: $vgpr14_vgpr15
	s_mov_b32 s0, exec_lo
	s_delay_alu instid0(VALU_DEP_1)
	v_cmpx_ne_u64_e32 0, v[2:3]
	s_xor_b32 s1, exec_lo, s0
	s_cbranch_execz .LBB6_18
; %bb.17:                               ;   in Loop: Header=BB6_4 Depth=1
	s_ashr_i32 s58, s25, 31
	v_dual_mov_b32 v11, v10 :: v_dual_mov_b32 v19, v2
	s_mov_b32 s59, s58
	v_mov_b32_e32 v27, v2
	s_add_nc_u64 s[60:61], s[24:25], s[58:59]
	s_delay_alu instid0(VALU_DEP_2)
	v_add_nc_u64_e32 v[14:15], v[6:7], v[10:11]
	s_xor_b64 s[60:61], s[60:61], s[58:59]
	v_mov_b32_e32 v23, v2
	s_cvt_f32_u32 s0, s60
	s_cvt_f32_u32 s2, s61
	s_sub_nc_u64 s[64:65], 0, s[60:61]
	s_delay_alu instid0(VALU_DEP_2) | instskip(NEXT) | instid1(SALU_CYCLE_1)
	v_xor_b32_e32 v18, v14, v10
	s_fmamk_f32 s0, s2, 0x4f800000, s0
	v_xor_b32_e32 v22, v15, v10
	v_xor_b32_e32 v10, s58, v10
	s_delay_alu instid0(SALU_CYCLE_1) | instskip(NEXT) | instid1(TRANS32_DEP_1)
	v_s_rcp_f32 s0, s0
	s_mul_f32 s0, s0, 0x5f7ffffc
	s_delay_alu instid0(SALU_CYCLE_3) | instskip(NEXT) | instid1(SALU_CYCLE_3)
	s_mul_f32 s2, s0, 0x2f800000
	s_trunc_f32 s2, s2
	s_delay_alu instid0(SALU_CYCLE_3) | instskip(SKIP_1) | instid1(SALU_CYCLE_2)
	s_fmamk_f32 s0, s2, 0xcf800000, s0
	s_cvt_u32_f32 s63, s2
	s_cvt_u32_f32 s62, s0
	s_delay_alu instid0(SALU_CYCLE_3) | instskip(NEXT) | instid1(SALU_CYCLE_1)
	s_mul_u64 s[66:67], s[64:65], s[62:63]
	s_mul_hi_u32 s69, s62, s67
	s_mul_i32 s68, s62, s67
	s_mul_hi_u32 s2, s62, s66
	s_mul_i32 s31, s63, s66
	s_add_nc_u64 s[68:69], s[2:3], s[68:69]
	s_mul_hi_u32 s0, s63, s66
	s_mul_hi_u32 s59, s63, s67
	s_add_co_u32 s2, s68, s31
	s_add_co_ci_u32 s2, s69, s0
	s_mul_i32 s66, s63, s67
	s_add_co_ci_u32 s67, s59, 0
	s_delay_alu instid0(SALU_CYCLE_1) | instskip(NEXT) | instid1(SALU_CYCLE_1)
	s_add_nc_u64 s[66:67], s[2:3], s[66:67]
	s_add_co_u32 s62, s62, s66
	s_cselect_b32 s0, -1, 0
	s_delay_alu instid0(SALU_CYCLE_1) | instskip(SKIP_1) | instid1(SALU_CYCLE_1)
	s_cmp_lg_u32 s0, 0
	s_add_co_ci_u32 s63, s63, s67
	s_mul_u64 s[64:65], s[64:65], s[62:63]
	s_delay_alu instid0(SALU_CYCLE_1)
	s_mul_hi_u32 s67, s62, s65
	s_mul_i32 s66, s62, s65
	s_mul_hi_u32 s2, s62, s64
	s_mul_i32 s31, s63, s64
	s_add_nc_u64 s[66:67], s[2:3], s[66:67]
	s_mul_hi_u32 s0, s63, s64
	s_mul_hi_u32 s59, s63, s65
	s_add_co_u32 s2, s66, s31
	s_add_co_ci_u32 s2, s67, s0
	s_mul_i32 s64, s63, s65
	s_add_co_ci_u32 s65, s59, 0
	s_delay_alu instid0(SALU_CYCLE_1) | instskip(NEXT) | instid1(SALU_CYCLE_1)
	s_add_nc_u64 s[64:65], s[2:3], s[64:65]
	s_add_co_u32 s0, s62, s64
	s_cselect_b32 s2, -1, 0
	v_nop
	v_mul_hi_u32 v26, v18, s0
	s_cmp_lg_u32 s2, 0
	s_add_co_ci_u32 s2, s63, s65
	s_and_b64 s[62:63], s[0:1], s[28:29]
	v_mul_u64_e32 v[20:21], s[2:3], v[18:19]
	v_mul_u64_e32 v[14:15], s[62:63], v[22:23]
	;; [unrolled: 1-line block ×3, first 2 shown]
	s_delay_alu instid0(VALU_DEP_3) | instskip(NEXT) | instid1(VALU_DEP_1)
	v_add_nc_u64_e32 v[20:21], v[26:27], v[20:21]
	v_add_co_u32 v3, vcc_lo, v20, v14
	s_delay_alu instid0(VALU_DEP_2) | instskip(NEXT) | instid1(VALU_DEP_4)
	v_add_co_ci_u32_e32 v26, vcc_lo, v21, v15, vcc_lo
	v_add_co_ci_u32_e32 v25, vcc_lo, 0, v25, vcc_lo
	s_delay_alu instid0(VALU_DEP_1) | instskip(NEXT) | instid1(VALU_DEP_1)
	v_add_nc_u64_e32 v[14:15], v[26:27], v[24:25]
	v_mul_u64_e32 v[20:21], s[60:61], v[14:15]
	s_delay_alu instid0(VALU_DEP_1) | instskip(NEXT) | instid1(VALU_DEP_2)
	v_sub_nc_u32_e32 v3, v22, v21
	v_sub_co_u32 v11, vcc_lo, v18, v20
	s_delay_alu instid0(VALU_DEP_1) | instskip(NEXT) | instid1(VALU_DEP_3)
	v_sub_co_ci_u32_e64 v22, null, v22, v21, vcc_lo
	v_subrev_co_ci_u32_e64 v3, null, s61, v3, vcc_lo
	s_delay_alu instid0(VALU_DEP_3) | instskip(SKIP_1) | instid1(VALU_DEP_3)
	v_sub_co_u32 v18, s0, v11, s60
	v_add_nc_u64_e32 v[20:21], 1, v[14:15]
	v_subrev_co_ci_u32_e64 v3, null, 0, v3, s0
	s_delay_alu instid0(VALU_DEP_3) | instskip(SKIP_1) | instid1(VALU_DEP_3)
	v_cmp_le_u32_e32 vcc_lo, s60, v18
	v_cndmask_b32_e64 v18, 0, -1, vcc_lo
	v_cmp_le_u32_e32 vcc_lo, s61, v3
	v_cndmask_b32_e64 v19, 0, -1, vcc_lo
	;; [unrolled: 2-line block ×4, first 2 shown]
	v_cmp_eq_u32_e32 vcc_lo, s61, v3
	v_cndmask_b32_e32 v3, v19, v18, vcc_lo
	v_cmp_eq_u32_e32 vcc_lo, s61, v22
	v_add_nc_u64_e32 v[18:19], 2, v[14:15]
	v_cndmask_b32_e32 v11, v23, v11, vcc_lo
	s_delay_alu instid0(VALU_DEP_4) | instskip(NEXT) | instid1(VALU_DEP_2)
	v_cmp_ne_u32_e32 vcc_lo, 0, v3
	v_cmp_ne_u32_e64 s0, 0, v11
	s_delay_alu instid0(VALU_DEP_4) | instskip(NEXT) | instid1(VALU_DEP_1)
	v_dual_cndmask_b32 v3, v21, v19, vcc_lo :: v_dual_cndmask_b32 v11, v20, v18, vcc_lo
	v_cndmask_b32_e64 v3, v15, v3, s0
	s_delay_alu instid0(VALU_DEP_2) | instskip(NEXT) | instid1(VALU_DEP_2)
	v_cndmask_b32_e64 v14, v14, v11, s0
	v_dual_mov_b32 v11, v10 :: v_dual_bitop2_b32 v15, v3, v10 bitop3:0x14
	s_delay_alu instid0(VALU_DEP_2) | instskip(NEXT) | instid1(VALU_DEP_1)
	v_xor_b32_e32 v14, v14, v10
	v_sub_nc_u64_e32 v[14:15], v[14:15], v[10:11]
.LBB6_18:                               ;   in Loop: Header=BB6_4 Depth=1
	s_and_not1_saveexec_b32 s0, s1
	s_cbranch_execz .LBB6_20
; %bb.19:                               ;   in Loop: Header=BB6_4 Depth=1
	v_cvt_f32_u32_e32 v3, s24
	s_sub_co_i32 s1, 0, s24
	v_mov_b32_e32 v15, v2
	s_delay_alu instid0(VALU_DEP_2) | instskip(SKIP_1) | instid1(TRANS32_DEP_1)
	v_rcp_iflag_f32_e32 v3, v3
	v_nop
	v_mul_f32_e32 v3, 0x4f7ffffe, v3
	s_delay_alu instid0(VALU_DEP_1) | instskip(NEXT) | instid1(VALU_DEP_1)
	v_cvt_u32_f32_e32 v3, v3
	v_mul_lo_u32 v10, s1, v3
	s_delay_alu instid0(VALU_DEP_1) | instskip(NEXT) | instid1(VALU_DEP_1)
	v_mul_hi_u32 v10, v3, v10
	v_add_nc_u32_e32 v3, v3, v10
	s_delay_alu instid0(VALU_DEP_1) | instskip(NEXT) | instid1(VALU_DEP_1)
	v_mul_hi_u32 v3, v6, v3
	v_mul_lo_u32 v10, v3, s24
	s_delay_alu instid0(VALU_DEP_1) | instskip(NEXT) | instid1(VALU_DEP_1)
	v_sub_nc_u32_e32 v10, v6, v10
	v_subrev_nc_u32_e32 v14, s24, v10
	v_cmp_le_u32_e32 vcc_lo, s24, v10
	s_delay_alu instid0(VALU_DEP_2) | instskip(NEXT) | instid1(VALU_DEP_1)
	v_dual_cndmask_b32 v10, v10, v14 :: v_dual_add_nc_u32 v11, 1, v3
	v_cndmask_b32_e32 v3, v3, v11, vcc_lo
	s_delay_alu instid0(VALU_DEP_2) | instskip(NEXT) | instid1(VALU_DEP_2)
	v_cmp_le_u32_e32 vcc_lo, s24, v10
	v_add_nc_u32_e32 v11, 1, v3
	s_delay_alu instid0(VALU_DEP_1)
	v_cndmask_b32_e32 v14, v3, v11, vcc_lo
.LBB6_20:                               ;   in Loop: Header=BB6_4 Depth=1
	s_or_b32 exec_lo, exec_lo, s0
	v_mul_u64_e32 v[16:17], s[14:15], v[16:17]
	s_mov_b32 s1, exec_lo
	s_delay_alu instid0(VALU_DEP_1) | instskip(NEXT) | instid1(VALU_DEP_1)
	v_sub_nc_u64_e32 v[10:11], v[6:7], v[16:17]
	v_add_nc_u64_e32 v[18:19], s[38:39], v[10:11]
	v_mov_b64_e32 v[10:11], 0
	s_delay_alu instid0(VALU_DEP_2)
	v_cmpx_lt_i64_e64 s[52:53], v[18:19]
	s_cbranch_execz .LBB6_26
; %bb.21:                               ;   in Loop: Header=BB6_4 Depth=1
	v_add_nc_u64_e32 v[10:11], s[56:57], v[18:19]
                                        ; implicit-def: $vgpr20_vgpr21
	s_mov_b32 s0, exec_lo
	s_delay_alu instid0(VALU_DEP_1) | instskip(NEXT) | instid1(VALU_DEP_1)
	v_or_b32_e32 v3, s43, v11
	v_cmpx_ne_u64_e32 0, v[2:3]
	s_xor_b32 s31, exec_lo, s0
	s_cbranch_execz .LBB6_23
; %bb.22:                               ;   in Loop: Header=BB6_4 Depth=1
	s_ashr_i32 s58, s43, 31
	v_dual_mov_b32 v23, v2 :: v_dual_ashrrev_i32 v20, 31, v11
	s_mov_b32 s59, s58
	v_mov_b32_e32 v31, v2
	s_add_nc_u64 s[60:61], s[42:43], s[58:59]
	s_delay_alu instid0(VALU_DEP_2) | instskip(SKIP_1) | instid1(SALU_CYCLE_1)
	v_mov_b32_e32 v21, v20
	s_xor_b64 s[60:61], s[60:61], s[58:59]
	s_cvt_f32_u32 s0, s60
	s_cvt_f32_u32 s2, s61
	s_sub_nc_u64 s[64:65], 0, s[60:61]
	v_add_nc_u64_e32 v[10:11], v[10:11], v[20:21]
	v_mov_b32_e32 v27, v2
	s_fmamk_f32 s0, s2, 0x4f800000, s0
	s_delay_alu instid0(SALU_CYCLE_3) | instskip(NEXT) | instid1(VALU_DEP_2)
	v_s_rcp_f32 s0, s0
	v_xor_b32_e32 v22, v10, v20
	s_delay_alu instid0(VALU_DEP_3) | instskip(NEXT) | instid1(TRANS32_DEP_1)
	v_xor_b32_e32 v26, v11, v20
	s_mul_f32 s0, s0, 0x5f7ffffc
	s_delay_alu instid0(SALU_CYCLE_3) | instskip(NEXT) | instid1(SALU_CYCLE_3)
	s_mul_f32 s2, s0, 0x2f800000
	s_trunc_f32 s2, s2
	s_delay_alu instid0(SALU_CYCLE_3) | instskip(SKIP_1) | instid1(SALU_CYCLE_2)
	s_fmamk_f32 s0, s2, 0xcf800000, s0
	s_cvt_u32_f32 s63, s2
	s_cvt_u32_f32 s62, s0
	s_delay_alu instid0(SALU_CYCLE_3) | instskip(NEXT) | instid1(SALU_CYCLE_1)
	s_mul_u64 s[66:67], s[64:65], s[62:63]
	s_mul_hi_u32 s69, s62, s67
	s_mul_i32 s68, s62, s67
	s_mul_hi_u32 s2, s62, s66
	s_mul_i32 s59, s63, s66
	s_add_nc_u64 s[68:69], s[2:3], s[68:69]
	s_mul_hi_u32 s0, s63, s66
	s_mul_hi_u32 s70, s63, s67
	s_add_co_u32 s2, s68, s59
	s_add_co_ci_u32 s2, s69, s0
	s_mul_i32 s66, s63, s67
	s_add_co_ci_u32 s67, s70, 0
	s_delay_alu instid0(SALU_CYCLE_1) | instskip(NEXT) | instid1(SALU_CYCLE_1)
	s_add_nc_u64 s[66:67], s[2:3], s[66:67]
	s_add_co_u32 s62, s62, s66
	s_cselect_b32 s0, -1, 0
	s_delay_alu instid0(SALU_CYCLE_1) | instskip(SKIP_1) | instid1(SALU_CYCLE_1)
	s_cmp_lg_u32 s0, 0
	s_add_co_ci_u32 s63, s63, s67
	s_mul_u64 s[64:65], s[64:65], s[62:63]
	s_delay_alu instid0(SALU_CYCLE_1)
	s_mul_hi_u32 s67, s62, s65
	s_mul_i32 s66, s62, s65
	s_mul_hi_u32 s2, s62, s64
	s_mul_i32 s59, s63, s64
	s_add_nc_u64 s[66:67], s[2:3], s[66:67]
	s_mul_hi_u32 s0, s63, s64
	s_mul_hi_u32 s68, s63, s65
	s_add_co_u32 s2, s66, s59
	s_add_co_ci_u32 s2, s67, s0
	s_mul_i32 s64, s63, s65
	s_add_co_ci_u32 s65, s68, 0
	s_delay_alu instid0(SALU_CYCLE_1) | instskip(NEXT) | instid1(SALU_CYCLE_1)
	s_add_nc_u64 s[64:65], s[2:3], s[64:65]
	s_add_co_u32 s0, s62, s64
	s_cselect_b32 s2, -1, 0
	v_mul_hi_u32 v30, v22, s0
	s_cmp_lg_u32 s2, 0
	s_add_co_ci_u32 s2, s63, s65
	s_and_b64 s[62:63], s[0:1], s[28:29]
	v_mul_u64_e32 v[24:25], s[2:3], v[22:23]
	v_mul_u64_e32 v[10:11], s[62:63], v[26:27]
	;; [unrolled: 1-line block ×3, first 2 shown]
	s_delay_alu instid0(VALU_DEP_3) | instskip(NEXT) | instid1(VALU_DEP_1)
	v_add_nc_u64_e32 v[24:25], v[30:31], v[24:25]
	v_add_co_u32 v3, vcc_lo, v24, v10
	s_delay_alu instid0(VALU_DEP_2) | instskip(NEXT) | instid1(VALU_DEP_4)
	v_add_co_ci_u32_e32 v30, vcc_lo, v25, v11, vcc_lo
	v_add_co_ci_u32_e32 v29, vcc_lo, 0, v29, vcc_lo
	s_delay_alu instid0(VALU_DEP_1) | instskip(NEXT) | instid1(VALU_DEP_1)
	v_add_nc_u64_e32 v[10:11], v[30:31], v[28:29]
	v_mul_u64_e32 v[24:25], s[60:61], v[10:11]
	s_delay_alu instid0(VALU_DEP_1) | instskip(NEXT) | instid1(VALU_DEP_2)
	v_sub_nc_u32_e32 v3, v26, v25
	v_sub_co_u32 v21, vcc_lo, v22, v24
	s_delay_alu instid0(VALU_DEP_1) | instskip(NEXT) | instid1(VALU_DEP_3)
	v_sub_co_ci_u32_e64 v26, null, v26, v25, vcc_lo
	v_subrev_co_ci_u32_e64 v3, null, s61, v3, vcc_lo
	s_delay_alu instid0(VALU_DEP_3) | instskip(SKIP_1) | instid1(VALU_DEP_3)
	v_sub_co_u32 v22, s0, v21, s60
	v_add_nc_u64_e32 v[24:25], 1, v[10:11]
	v_subrev_co_ci_u32_e64 v3, null, 0, v3, s0
	s_delay_alu instid0(VALU_DEP_3) | instskip(SKIP_1) | instid1(VALU_DEP_3)
	v_cmp_le_u32_e32 vcc_lo, s60, v22
	v_cndmask_b32_e64 v22, 0, -1, vcc_lo
	v_cmp_le_u32_e32 vcc_lo, s61, v3
	v_cndmask_b32_e64 v23, 0, -1, vcc_lo
	;; [unrolled: 2-line block ×4, first 2 shown]
	v_cmp_eq_u32_e32 vcc_lo, s61, v3
	v_cndmask_b32_e32 v3, v23, v22, vcc_lo
	v_cmp_eq_u32_e32 vcc_lo, s61, v26
	v_add_nc_u64_e32 v[22:23], 2, v[10:11]
	v_cndmask_b32_e32 v21, v27, v21, vcc_lo
	s_delay_alu instid0(VALU_DEP_4) | instskip(NEXT) | instid1(VALU_DEP_3)
	v_cmp_ne_u32_e32 vcc_lo, 0, v3
	v_cndmask_b32_e32 v3, v25, v23, vcc_lo
	s_delay_alu instid0(VALU_DEP_3) | instskip(SKIP_1) | instid1(VALU_DEP_1)
	v_cmp_ne_u32_e64 s0, 0, v21
	v_dual_cndmask_b32 v21, v24, v22, vcc_lo :: v_dual_bitop2_b32 v20, s58, v20 bitop3:0x14
	v_dual_cndmask_b32 v3, v11, v3, s0 :: v_dual_cndmask_b32 v10, v10, v21, s0
	s_delay_alu instid0(VALU_DEP_1) | instskip(NEXT) | instid1(VALU_DEP_2)
	v_dual_mov_b32 v21, v20 :: v_dual_bitop2_b32 v11, v3, v20 bitop3:0x14
	v_xor_b32_e32 v10, v10, v20
	s_delay_alu instid0(VALU_DEP_1)
	v_sub_nc_u64_e32 v[20:21], v[10:11], v[20:21]
                                        ; implicit-def: $vgpr10_vgpr11
.LBB6_23:                               ;   in Loop: Header=BB6_4 Depth=1
	s_and_not1_saveexec_b32 s0, s31
	s_cbranch_execz .LBB6_25
; %bb.24:                               ;   in Loop: Header=BB6_4 Depth=1
	v_cvt_f32_u32_e32 v3, s42
	s_sub_co_i32 s2, 0, s42
	v_mov_b32_e32 v21, v2
	s_delay_alu instid0(VALU_DEP_2) | instskip(SKIP_1) | instid1(TRANS32_DEP_1)
	v_rcp_iflag_f32_e32 v3, v3
	v_nop
	v_mul_f32_e32 v3, 0x4f7ffffe, v3
	s_delay_alu instid0(VALU_DEP_1) | instskip(NEXT) | instid1(VALU_DEP_1)
	v_cvt_u32_f32_e32 v3, v3
	v_mul_lo_u32 v11, s2, v3
	s_delay_alu instid0(VALU_DEP_1) | instskip(NEXT) | instid1(VALU_DEP_1)
	v_mul_hi_u32 v11, v3, v11
	v_add_nc_u32_e32 v3, v3, v11
	s_delay_alu instid0(VALU_DEP_1) | instskip(NEXT) | instid1(VALU_DEP_1)
	v_mul_hi_u32 v3, v10, v3
	v_mul_lo_u32 v11, v3, s42
	s_delay_alu instid0(VALU_DEP_1) | instskip(SKIP_1) | instid1(VALU_DEP_2)
	v_sub_nc_u32_e32 v10, v10, v11
	v_add_nc_u32_e32 v11, 1, v3
	v_subrev_nc_u32_e32 v20, s42, v10
	v_cmp_le_u32_e32 vcc_lo, s42, v10
	s_delay_alu instid0(VALU_DEP_2) | instskip(NEXT) | instid1(VALU_DEP_1)
	v_dual_cndmask_b32 v10, v10, v20 :: v_dual_cndmask_b32 v3, v3, v11
	v_cmp_le_u32_e32 vcc_lo, s42, v10
	s_delay_alu instid0(VALU_DEP_2) | instskip(NEXT) | instid1(VALU_DEP_1)
	v_add_nc_u32_e32 v11, 1, v3
	v_cndmask_b32_e32 v20, v3, v11, vcc_lo
.LBB6_25:                               ;   in Loop: Header=BB6_4 Depth=1
	s_or_b32 exec_lo, exec_lo, s0
	s_delay_alu instid0(VALU_DEP_1)
	v_add_nc_u64_e32 v[10:11], 1, v[20:21]
.LBB6_26:                               ;   in Loop: Header=BB6_4 Depth=1
	s_or_b32 exec_lo, exec_lo, s1
	v_or_b32_e32 v3, s43, v19
                                        ; implicit-def: $vgpr22_vgpr23
	s_mov_b32 s0, exec_lo
	s_delay_alu instid0(VALU_DEP_1)
	v_cmpx_ne_u64_e32 0, v[2:3]
	s_xor_b32 s1, exec_lo, s0
	s_cbranch_execz .LBB6_28
; %bb.27:                               ;   in Loop: Header=BB6_4 Depth=1
	s_ashr_i32 s58, s43, 31
	v_dual_mov_b32 v23, v2 :: v_dual_ashrrev_i32 v20, 31, v19
	s_mov_b32 s59, s58
	v_mov_b32_e32 v31, v2
	s_add_nc_u64 s[60:61], s[42:43], s[58:59]
	s_delay_alu instid0(VALU_DEP_2) | instskip(SKIP_1) | instid1(SALU_CYCLE_1)
	v_mov_b32_e32 v21, v20
	s_xor_b64 s[60:61], s[60:61], s[58:59]
	s_cvt_f32_u32 s0, s60
	s_cvt_f32_u32 s2, s61
	s_sub_nc_u64 s[64:65], 0, s[60:61]
	v_add_nc_u64_e32 v[18:19], v[18:19], v[20:21]
	v_mov_b32_e32 v27, v2
	s_fmamk_f32 s0, s2, 0x4f800000, s0
	s_delay_alu instid0(SALU_CYCLE_3) | instskip(NEXT) | instid1(VALU_DEP_2)
	v_s_rcp_f32 s0, s0
	v_xor_b32_e32 v22, v18, v20
	s_delay_alu instid0(VALU_DEP_3) | instskip(NEXT) | instid1(TRANS32_DEP_1)
	v_xor_b32_e32 v26, v19, v20
	s_mul_f32 s0, s0, 0x5f7ffffc
	s_delay_alu instid0(SALU_CYCLE_3) | instskip(NEXT) | instid1(SALU_CYCLE_3)
	s_mul_f32 s2, s0, 0x2f800000
	s_trunc_f32 s2, s2
	s_delay_alu instid0(SALU_CYCLE_3) | instskip(SKIP_1) | instid1(SALU_CYCLE_2)
	s_fmamk_f32 s0, s2, 0xcf800000, s0
	s_cvt_u32_f32 s63, s2
	s_cvt_u32_f32 s62, s0
	s_delay_alu instid0(SALU_CYCLE_3) | instskip(NEXT) | instid1(SALU_CYCLE_1)
	s_mul_u64 s[66:67], s[64:65], s[62:63]
	s_mul_hi_u32 s69, s62, s67
	s_mul_i32 s68, s62, s67
	s_mul_hi_u32 s2, s62, s66
	s_mul_i32 s31, s63, s66
	s_add_nc_u64 s[68:69], s[2:3], s[68:69]
	s_mul_hi_u32 s0, s63, s66
	s_mul_hi_u32 s59, s63, s67
	s_add_co_u32 s2, s68, s31
	s_add_co_ci_u32 s2, s69, s0
	s_mul_i32 s66, s63, s67
	s_add_co_ci_u32 s67, s59, 0
	s_delay_alu instid0(SALU_CYCLE_1) | instskip(NEXT) | instid1(SALU_CYCLE_1)
	s_add_nc_u64 s[66:67], s[2:3], s[66:67]
	s_add_co_u32 s62, s62, s66
	s_cselect_b32 s0, -1, 0
	s_delay_alu instid0(SALU_CYCLE_1) | instskip(SKIP_1) | instid1(SALU_CYCLE_1)
	s_cmp_lg_u32 s0, 0
	s_add_co_ci_u32 s63, s63, s67
	s_mul_u64 s[64:65], s[64:65], s[62:63]
	s_delay_alu instid0(SALU_CYCLE_1)
	s_mul_hi_u32 s67, s62, s65
	s_mul_i32 s66, s62, s65
	s_mul_hi_u32 s2, s62, s64
	s_mul_i32 s31, s63, s64
	s_add_nc_u64 s[66:67], s[2:3], s[66:67]
	s_mul_hi_u32 s0, s63, s64
	s_mul_hi_u32 s59, s63, s65
	s_add_co_u32 s2, s66, s31
	s_add_co_ci_u32 s2, s67, s0
	s_mul_i32 s64, s63, s65
	s_add_co_ci_u32 s65, s59, 0
	s_delay_alu instid0(SALU_CYCLE_1) | instskip(NEXT) | instid1(SALU_CYCLE_1)
	s_add_nc_u64 s[64:65], s[2:3], s[64:65]
	s_add_co_u32 s0, s62, s64
	s_cselect_b32 s2, -1, 0
	v_mul_hi_u32 v30, v22, s0
	s_cmp_lg_u32 s2, 0
	s_add_co_ci_u32 s2, s63, s65
	s_and_b64 s[62:63], s[0:1], s[28:29]
	v_mul_u64_e32 v[24:25], s[2:3], v[22:23]
	v_mul_u64_e32 v[18:19], s[62:63], v[26:27]
	;; [unrolled: 1-line block ×3, first 2 shown]
	s_delay_alu instid0(VALU_DEP_3) | instskip(NEXT) | instid1(VALU_DEP_1)
	v_add_nc_u64_e32 v[24:25], v[30:31], v[24:25]
	v_add_co_u32 v3, vcc_lo, v24, v18
	s_delay_alu instid0(VALU_DEP_2) | instskip(NEXT) | instid1(VALU_DEP_4)
	v_add_co_ci_u32_e32 v30, vcc_lo, v25, v19, vcc_lo
	v_add_co_ci_u32_e32 v29, vcc_lo, 0, v29, vcc_lo
	s_delay_alu instid0(VALU_DEP_1) | instskip(NEXT) | instid1(VALU_DEP_1)
	v_add_nc_u64_e32 v[18:19], v[30:31], v[28:29]
	v_mul_u64_e32 v[24:25], s[60:61], v[18:19]
	s_delay_alu instid0(VALU_DEP_1) | instskip(NEXT) | instid1(VALU_DEP_2)
	v_sub_nc_u32_e32 v3, v26, v25
	v_sub_co_u32 v21, vcc_lo, v22, v24
	s_delay_alu instid0(VALU_DEP_1) | instskip(NEXT) | instid1(VALU_DEP_3)
	v_sub_co_ci_u32_e64 v26, null, v26, v25, vcc_lo
	v_subrev_co_ci_u32_e64 v3, null, s61, v3, vcc_lo
	s_delay_alu instid0(VALU_DEP_3) | instskip(SKIP_1) | instid1(VALU_DEP_3)
	v_sub_co_u32 v22, s0, v21, s60
	v_add_nc_u64_e32 v[24:25], 1, v[18:19]
	v_subrev_co_ci_u32_e64 v3, null, 0, v3, s0
	s_delay_alu instid0(VALU_DEP_3) | instskip(SKIP_1) | instid1(VALU_DEP_3)
	v_cmp_le_u32_e32 vcc_lo, s60, v22
	v_cndmask_b32_e64 v22, 0, -1, vcc_lo
	v_cmp_le_u32_e32 vcc_lo, s61, v3
	v_cndmask_b32_e64 v23, 0, -1, vcc_lo
	;; [unrolled: 2-line block ×4, first 2 shown]
	v_cmp_eq_u32_e32 vcc_lo, s61, v3
	v_cndmask_b32_e32 v3, v23, v22, vcc_lo
	v_cmp_eq_u32_e32 vcc_lo, s61, v26
	v_add_nc_u64_e32 v[22:23], 2, v[18:19]
	v_cndmask_b32_e32 v21, v27, v21, vcc_lo
	s_delay_alu instid0(VALU_DEP_4) | instskip(NEXT) | instid1(VALU_DEP_3)
	v_cmp_ne_u32_e32 vcc_lo, 0, v3
	v_cndmask_b32_e32 v3, v25, v23, vcc_lo
	s_delay_alu instid0(VALU_DEP_3) | instskip(SKIP_1) | instid1(VALU_DEP_1)
	v_cmp_ne_u32_e64 s0, 0, v21
	v_dual_cndmask_b32 v21, v24, v22, vcc_lo :: v_dual_bitop2_b32 v20, s58, v20 bitop3:0x14
	v_dual_cndmask_b32 v3, v19, v3, s0 :: v_dual_cndmask_b32 v18, v18, v21, s0
	s_delay_alu instid0(VALU_DEP_1) | instskip(NEXT) | instid1(VALU_DEP_2)
	v_dual_mov_b32 v21, v20 :: v_dual_bitop2_b32 v19, v3, v20 bitop3:0x14
	v_xor_b32_e32 v18, v18, v20
	s_delay_alu instid0(VALU_DEP_1)
	v_sub_nc_u64_e32 v[22:23], v[18:19], v[20:21]
                                        ; implicit-def: $vgpr18_vgpr19
.LBB6_28:                               ;   in Loop: Header=BB6_4 Depth=1
	s_and_not1_saveexec_b32 s0, s1
	s_cbranch_execz .LBB6_30
; %bb.29:                               ;   in Loop: Header=BB6_4 Depth=1
	v_cvt_f32_u32_e32 v3, s42
	s_sub_co_i32 s1, 0, s42
	v_mov_b32_e32 v23, v2
	s_delay_alu instid0(VALU_DEP_2) | instskip(SKIP_1) | instid1(TRANS32_DEP_1)
	v_rcp_iflag_f32_e32 v3, v3
	v_nop
	v_mul_f32_e32 v3, 0x4f7ffffe, v3
	s_delay_alu instid0(VALU_DEP_1) | instskip(NEXT) | instid1(VALU_DEP_1)
	v_cvt_u32_f32_e32 v3, v3
	v_mul_lo_u32 v19, s1, v3
	s_delay_alu instid0(VALU_DEP_1) | instskip(NEXT) | instid1(VALU_DEP_1)
	v_mul_hi_u32 v19, v3, v19
	v_add_nc_u32_e32 v3, v3, v19
	s_delay_alu instid0(VALU_DEP_1) | instskip(NEXT) | instid1(VALU_DEP_1)
	v_mul_hi_u32 v3, v18, v3
	v_mul_lo_u32 v19, v3, s42
	s_delay_alu instid0(VALU_DEP_1) | instskip(SKIP_1) | instid1(VALU_DEP_2)
	v_sub_nc_u32_e32 v18, v18, v19
	v_add_nc_u32_e32 v19, 1, v3
	v_subrev_nc_u32_e32 v20, s42, v18
	v_cmp_le_u32_e32 vcc_lo, s42, v18
	s_delay_alu instid0(VALU_DEP_2) | instskip(NEXT) | instid1(VALU_DEP_1)
	v_dual_cndmask_b32 v18, v18, v20 :: v_dual_cndmask_b32 v3, v3, v19
	v_cmp_le_u32_e32 vcc_lo, s42, v18
	s_delay_alu instid0(VALU_DEP_2) | instskip(NEXT) | instid1(VALU_DEP_1)
	v_add_nc_u32_e32 v19, 1, v3
	v_cndmask_b32_e32 v22, v3, v19, vcc_lo
.LBB6_30:                               ;   in Loop: Header=BB6_4 Depth=1
	s_or_b32 exec_lo, exec_lo, s0
	v_add_nc_u64_e32 v[12:13], s[36:37], v[12:13]
	v_mov_b64_e32 v[18:19], 0
	s_mov_b32 s1, exec_lo
	s_delay_alu instid0(VALU_DEP_2)
	v_cmpx_lt_i64_e64 s[34:35], v[12:13]
	s_cbranch_execz .LBB6_36
; %bb.31:                               ;   in Loop: Header=BB6_4 Depth=1
	v_add_nc_u64_e32 v[18:19], s[54:55], v[12:13]
                                        ; implicit-def: $vgpr20_vgpr21
	s_mov_b32 s0, exec_lo
	s_delay_alu instid0(VALU_DEP_1) | instskip(NEXT) | instid1(VALU_DEP_1)
	v_or_b32_e32 v3, s41, v19
	v_cmpx_ne_u64_e32 0, v[2:3]
	s_xor_b32 s31, exec_lo, s0
	s_cbranch_execz .LBB6_33
; %bb.32:                               ;   in Loop: Header=BB6_4 Depth=1
	s_ashr_i32 s58, s41, 31
	v_dual_mov_b32 v25, v2 :: v_dual_ashrrev_i32 v20, 31, v19
	s_mov_b32 s59, s58
	s_delay_alu instid0(SALU_CYCLE_1) | instskip(NEXT) | instid1(VALU_DEP_1)
	s_add_nc_u64 s[60:61], s[40:41], s[58:59]
	v_mov_b32_e32 v21, v20
	s_xor_b64 s[60:61], s[60:61], s[58:59]
	s_delay_alu instid0(SALU_CYCLE_1)
	s_cvt_f32_u32 s0, s60
	s_cvt_f32_u32 s2, s61
	s_sub_nc_u64 s[64:65], 0, s[60:61]
	v_add_nc_u64_e32 v[18:19], v[18:19], v[20:21]
	v_mov_b32_e32 v29, v2
	s_fmamk_f32 s0, s2, 0x4f800000, s0
	s_delay_alu instid0(SALU_CYCLE_3) | instskip(NEXT) | instid1(VALU_DEP_2)
	v_s_rcp_f32 s0, s0
	v_xor_b32_e32 v24, v18, v20
	s_delay_alu instid0(VALU_DEP_3) | instskip(SKIP_1) | instid1(TRANS32_DEP_1)
	v_dual_mov_b32 v35, v2 :: v_dual_bitop2_b32 v28, v19, v20 bitop3:0x14
	v_xor_b32_e32 v20, s58, v20
	s_mul_f32 s0, s0, 0x5f7ffffc
	s_delay_alu instid0(SALU_CYCLE_3) | instskip(NEXT) | instid1(SALU_CYCLE_3)
	s_mul_f32 s2, s0, 0x2f800000
	s_trunc_f32 s2, s2
	s_delay_alu instid0(SALU_CYCLE_3) | instskip(SKIP_1) | instid1(SALU_CYCLE_2)
	s_fmamk_f32 s0, s2, 0xcf800000, s0
	s_cvt_u32_f32 s63, s2
	s_cvt_u32_f32 s62, s0
	s_delay_alu instid0(SALU_CYCLE_3) | instskip(NEXT) | instid1(SALU_CYCLE_1)
	s_mul_u64 s[66:67], s[64:65], s[62:63]
	s_mul_hi_u32 s69, s62, s67
	s_mul_i32 s68, s62, s67
	s_mul_hi_u32 s2, s62, s66
	s_mul_i32 s59, s63, s66
	s_add_nc_u64 s[68:69], s[2:3], s[68:69]
	s_mul_hi_u32 s0, s63, s66
	s_mul_hi_u32 s70, s63, s67
	s_add_co_u32 s2, s68, s59
	s_add_co_ci_u32 s2, s69, s0
	s_mul_i32 s66, s63, s67
	s_add_co_ci_u32 s67, s70, 0
	s_delay_alu instid0(SALU_CYCLE_1) | instskip(NEXT) | instid1(SALU_CYCLE_1)
	s_add_nc_u64 s[66:67], s[2:3], s[66:67]
	s_add_co_u32 s62, s62, s66
	s_cselect_b32 s0, -1, 0
	s_delay_alu instid0(SALU_CYCLE_1) | instskip(SKIP_1) | instid1(SALU_CYCLE_1)
	s_cmp_lg_u32 s0, 0
	s_add_co_ci_u32 s63, s63, s67
	s_mul_u64 s[64:65], s[64:65], s[62:63]
	s_delay_alu instid0(SALU_CYCLE_1)
	s_mul_hi_u32 s67, s62, s65
	s_mul_i32 s66, s62, s65
	s_mul_hi_u32 s2, s62, s64
	s_mul_i32 s59, s63, s64
	s_add_nc_u64 s[66:67], s[2:3], s[66:67]
	s_mul_hi_u32 s0, s63, s64
	s_mul_hi_u32 s68, s63, s65
	s_add_co_u32 s2, s66, s59
	s_add_co_ci_u32 s2, s67, s0
	s_mul_i32 s64, s63, s65
	s_add_co_ci_u32 s65, s68, 0
	s_delay_alu instid0(SALU_CYCLE_1) | instskip(NEXT) | instid1(SALU_CYCLE_1)
	s_add_nc_u64 s[64:65], s[2:3], s[64:65]
	s_add_co_u32 s0, s62, s64
	s_cselect_b32 s2, -1, 0
	v_mul_hi_u32 v34, v24, s0
	s_cmp_lg_u32 s2, 0
	s_add_co_ci_u32 s2, s63, s65
	s_and_b64 s[62:63], s[0:1], s[28:29]
	v_mul_u64_e32 v[26:27], s[2:3], v[24:25]
	v_mul_u64_e32 v[18:19], s[62:63], v[28:29]
	v_mul_u64_e32 v[30:31], s[2:3], v[28:29]
	s_delay_alu instid0(VALU_DEP_3) | instskip(NEXT) | instid1(VALU_DEP_1)
	v_add_nc_u64_e32 v[26:27], v[34:35], v[26:27]
	v_add_co_u32 v3, vcc_lo, v26, v18
	s_delay_alu instid0(VALU_DEP_2) | instskip(NEXT) | instid1(VALU_DEP_4)
	v_add_co_ci_u32_e32 v34, vcc_lo, v27, v19, vcc_lo
	v_add_co_ci_u32_e32 v31, vcc_lo, 0, v31, vcc_lo
	s_delay_alu instid0(VALU_DEP_1) | instskip(NEXT) | instid1(VALU_DEP_1)
	v_add_nc_u64_e32 v[18:19], v[34:35], v[30:31]
	v_mul_u64_e32 v[26:27], s[60:61], v[18:19]
	s_delay_alu instid0(VALU_DEP_1) | instskip(NEXT) | instid1(VALU_DEP_2)
	v_sub_nc_u32_e32 v3, v28, v27
	v_sub_co_u32 v21, vcc_lo, v24, v26
	s_delay_alu instid0(VALU_DEP_1) | instskip(NEXT) | instid1(VALU_DEP_3)
	v_sub_co_ci_u32_e64 v28, null, v28, v27, vcc_lo
	v_subrev_co_ci_u32_e64 v3, null, s61, v3, vcc_lo
	s_delay_alu instid0(VALU_DEP_3) | instskip(SKIP_1) | instid1(VALU_DEP_3)
	v_sub_co_u32 v24, s0, v21, s60
	v_add_nc_u64_e32 v[26:27], 1, v[18:19]
	v_subrev_co_ci_u32_e64 v3, null, 0, v3, s0
	s_delay_alu instid0(VALU_DEP_3) | instskip(SKIP_1) | instid1(VALU_DEP_3)
	v_cmp_le_u32_e32 vcc_lo, s60, v24
	v_cndmask_b32_e64 v24, 0, -1, vcc_lo
	v_cmp_le_u32_e32 vcc_lo, s61, v3
	v_cndmask_b32_e64 v25, 0, -1, vcc_lo
	;; [unrolled: 2-line block ×4, first 2 shown]
	v_cmp_eq_u32_e32 vcc_lo, s61, v3
	v_cndmask_b32_e32 v3, v25, v24, vcc_lo
	v_cmp_eq_u32_e32 vcc_lo, s61, v28
	v_add_nc_u64_e32 v[24:25], 2, v[18:19]
	v_cndmask_b32_e32 v21, v29, v21, vcc_lo
	s_delay_alu instid0(VALU_DEP_4) | instskip(NEXT) | instid1(VALU_DEP_2)
	v_cmp_ne_u32_e32 vcc_lo, 0, v3
	v_cmp_ne_u32_e64 s0, 0, v21
	s_delay_alu instid0(VALU_DEP_4) | instskip(NEXT) | instid1(VALU_DEP_1)
	v_dual_cndmask_b32 v3, v27, v25, vcc_lo :: v_dual_cndmask_b32 v21, v26, v24, vcc_lo
	v_dual_cndmask_b32 v18, v18, v21, s0 :: v_dual_mov_b32 v21, v20
	s_delay_alu instid0(VALU_DEP_1) | instskip(NEXT) | instid1(VALU_DEP_1)
	v_dual_cndmask_b32 v3, v19, v3, s0 :: v_dual_bitop2_b32 v18, v18, v20 bitop3:0x14
	v_xor_b32_e32 v19, v3, v20
	s_delay_alu instid0(VALU_DEP_1)
	v_sub_nc_u64_e32 v[20:21], v[18:19], v[20:21]
                                        ; implicit-def: $vgpr18_vgpr19
.LBB6_33:                               ;   in Loop: Header=BB6_4 Depth=1
	s_and_not1_saveexec_b32 s0, s31
	s_cbranch_execz .LBB6_35
; %bb.34:                               ;   in Loop: Header=BB6_4 Depth=1
	v_cvt_f32_u32_e32 v3, s40
	s_sub_co_i32 s2, 0, s40
	v_mov_b32_e32 v21, v2
	s_delay_alu instid0(VALU_DEP_2) | instskip(SKIP_1) | instid1(TRANS32_DEP_1)
	v_rcp_iflag_f32_e32 v3, v3
	v_nop
	v_mul_f32_e32 v3, 0x4f7ffffe, v3
	s_delay_alu instid0(VALU_DEP_1) | instskip(NEXT) | instid1(VALU_DEP_1)
	v_cvt_u32_f32_e32 v3, v3
	v_mul_lo_u32 v19, s2, v3
	s_delay_alu instid0(VALU_DEP_1) | instskip(NEXT) | instid1(VALU_DEP_1)
	v_mul_hi_u32 v19, v3, v19
	v_add_nc_u32_e32 v3, v3, v19
	s_delay_alu instid0(VALU_DEP_1) | instskip(NEXT) | instid1(VALU_DEP_1)
	v_mul_hi_u32 v3, v18, v3
	v_mul_lo_u32 v19, v3, s40
	s_delay_alu instid0(VALU_DEP_1) | instskip(SKIP_1) | instid1(VALU_DEP_2)
	v_sub_nc_u32_e32 v18, v18, v19
	v_add_nc_u32_e32 v19, 1, v3
	v_subrev_nc_u32_e32 v20, s40, v18
	v_cmp_le_u32_e32 vcc_lo, s40, v18
	s_delay_alu instid0(VALU_DEP_2) | instskip(NEXT) | instid1(VALU_DEP_1)
	v_dual_cndmask_b32 v18, v18, v20 :: v_dual_cndmask_b32 v3, v3, v19
	v_cmp_le_u32_e32 vcc_lo, s40, v18
	s_delay_alu instid0(VALU_DEP_2) | instskip(NEXT) | instid1(VALU_DEP_1)
	v_add_nc_u32_e32 v19, 1, v3
	v_cndmask_b32_e32 v20, v3, v19, vcc_lo
.LBB6_35:                               ;   in Loop: Header=BB6_4 Depth=1
	s_or_b32 exec_lo, exec_lo, s0
	s_delay_alu instid0(VALU_DEP_1)
	v_add_nc_u64_e32 v[18:19], 1, v[20:21]
.LBB6_36:                               ;   in Loop: Header=BB6_4 Depth=1
	s_or_b32 exec_lo, exec_lo, s1
	v_or_b32_e32 v3, s41, v13
                                        ; implicit-def: $vgpr20_vgpr21
	s_mov_b32 s0, exec_lo
	s_delay_alu instid0(VALU_DEP_1)
	v_cmpx_ne_u64_e32 0, v[2:3]
	s_xor_b32 s1, exec_lo, s0
	s_cbranch_execz .LBB6_38
; %bb.37:                               ;   in Loop: Header=BB6_4 Depth=1
	s_ashr_i32 s58, s41, 31
	v_dual_mov_b32 v27, v2 :: v_dual_ashrrev_i32 v20, 31, v13
	s_mov_b32 s59, s58
	v_mov_b32_e32 v31, v2
	s_add_nc_u64 s[60:61], s[40:41], s[58:59]
	s_delay_alu instid0(VALU_DEP_2)
	v_mov_b32_e32 v21, v20
	s_xor_b64 s[60:61], s[60:61], s[58:59]
	v_mov_b32_e32 v37, v2
	s_cvt_f32_u32 s0, s60
	s_cvt_f32_u32 s2, s61
	s_sub_nc_u64 s[64:65], 0, s[60:61]
	v_add_nc_u64_e32 v[24:25], v[12:13], v[20:21]
	s_delay_alu instid0(SALU_CYCLE_1) | instskip(NEXT) | instid1(SALU_CYCLE_3)
	s_fmamk_f32 s0, s2, 0x4f800000, s0
	v_s_rcp_f32 s0, s0
	s_delay_alu instid0(VALU_DEP_1) | instskip(NEXT) | instid1(VALU_DEP_2)
	v_xor_b32_e32 v26, v24, v20
	v_xor_b32_e32 v30, v25, v20
	s_delay_alu instid0(TRANS32_DEP_1) | instskip(NEXT) | instid1(SALU_CYCLE_3)
	s_mul_f32 s0, s0, 0x5f7ffffc
	s_mul_f32 s2, s0, 0x2f800000
	s_delay_alu instid0(SALU_CYCLE_3) | instskip(NEXT) | instid1(SALU_CYCLE_3)
	s_trunc_f32 s2, s2
	s_fmamk_f32 s0, s2, 0xcf800000, s0
	s_cvt_u32_f32 s63, s2
	s_delay_alu instid0(SALU_CYCLE_2) | instskip(NEXT) | instid1(SALU_CYCLE_3)
	s_cvt_u32_f32 s62, s0
	s_mul_u64 s[66:67], s[64:65], s[62:63]
	s_delay_alu instid0(SALU_CYCLE_1)
	s_mul_hi_u32 s69, s62, s67
	s_mul_i32 s68, s62, s67
	s_mul_hi_u32 s2, s62, s66
	s_mul_i32 s31, s63, s66
	s_add_nc_u64 s[68:69], s[2:3], s[68:69]
	s_mul_hi_u32 s0, s63, s66
	s_mul_hi_u32 s59, s63, s67
	s_add_co_u32 s2, s68, s31
	s_add_co_ci_u32 s2, s69, s0
	s_mul_i32 s66, s63, s67
	s_add_co_ci_u32 s67, s59, 0
	s_delay_alu instid0(SALU_CYCLE_1) | instskip(NEXT) | instid1(SALU_CYCLE_1)
	s_add_nc_u64 s[66:67], s[2:3], s[66:67]
	s_add_co_u32 s62, s62, s66
	s_cselect_b32 s0, -1, 0
	s_delay_alu instid0(SALU_CYCLE_1) | instskip(SKIP_1) | instid1(SALU_CYCLE_1)
	s_cmp_lg_u32 s0, 0
	s_add_co_ci_u32 s63, s63, s67
	s_mul_u64 s[64:65], s[64:65], s[62:63]
	s_delay_alu instid0(SALU_CYCLE_1)
	s_mul_hi_u32 s67, s62, s65
	s_mul_i32 s66, s62, s65
	s_mul_hi_u32 s2, s62, s64
	s_mul_i32 s31, s63, s64
	s_add_nc_u64 s[66:67], s[2:3], s[66:67]
	s_mul_hi_u32 s0, s63, s64
	s_mul_hi_u32 s59, s63, s65
	s_add_co_u32 s2, s66, s31
	s_add_co_ci_u32 s2, s67, s0
	s_mul_i32 s64, s63, s65
	s_add_co_ci_u32 s65, s59, 0
	s_delay_alu instid0(SALU_CYCLE_1) | instskip(NEXT) | instid1(SALU_CYCLE_1)
	s_add_nc_u64 s[64:65], s[2:3], s[64:65]
	s_add_co_u32 s0, s62, s64
	s_cselect_b32 s2, -1, 0
	v_mul_hi_u32 v36, v26, s0
	s_cmp_lg_u32 s2, 0
	s_add_co_ci_u32 s2, s63, s65
	s_and_b64 s[62:63], s[0:1], s[28:29]
	v_mul_u64_e32 v[28:29], s[2:3], v[26:27]
	v_mul_u64_e32 v[24:25], s[62:63], v[30:31]
	;; [unrolled: 1-line block ×3, first 2 shown]
	s_delay_alu instid0(VALU_DEP_3) | instskip(NEXT) | instid1(VALU_DEP_1)
	v_add_nc_u64_e32 v[28:29], v[36:37], v[28:29]
	v_add_co_u32 v3, vcc_lo, v28, v24
	s_delay_alu instid0(VALU_DEP_2) | instskip(NEXT) | instid1(VALU_DEP_4)
	v_add_co_ci_u32_e32 v36, vcc_lo, v29, v25, vcc_lo
	v_add_co_ci_u32_e32 v35, vcc_lo, 0, v35, vcc_lo
	s_delay_alu instid0(VALU_DEP_1) | instskip(NEXT) | instid1(VALU_DEP_1)
	v_add_nc_u64_e32 v[24:25], v[36:37], v[34:35]
	v_mul_u64_e32 v[28:29], s[60:61], v[24:25]
	s_delay_alu instid0(VALU_DEP_1) | instskip(NEXT) | instid1(VALU_DEP_2)
	v_sub_nc_u32_e32 v3, v30, v29
	v_sub_co_u32 v21, vcc_lo, v26, v28
	s_delay_alu instid0(VALU_DEP_1) | instskip(NEXT) | instid1(VALU_DEP_3)
	v_sub_co_ci_u32_e64 v30, null, v30, v29, vcc_lo
	v_subrev_co_ci_u32_e64 v3, null, s61, v3, vcc_lo
	s_delay_alu instid0(VALU_DEP_3) | instskip(SKIP_1) | instid1(VALU_DEP_3)
	v_sub_co_u32 v26, s0, v21, s60
	v_add_nc_u64_e32 v[28:29], 1, v[24:25]
	v_subrev_co_ci_u32_e64 v3, null, 0, v3, s0
	s_delay_alu instid0(VALU_DEP_3) | instskip(SKIP_1) | instid1(VALU_DEP_3)
	v_cmp_le_u32_e32 vcc_lo, s60, v26
	v_cndmask_b32_e64 v26, 0, -1, vcc_lo
	v_cmp_le_u32_e32 vcc_lo, s61, v3
	v_cndmask_b32_e64 v27, 0, -1, vcc_lo
	v_cmp_le_u32_e32 vcc_lo, s60, v21
	v_cndmask_b32_e64 v21, 0, -1, vcc_lo
	v_cmp_le_u32_e32 vcc_lo, s61, v30
	v_cndmask_b32_e64 v31, 0, -1, vcc_lo
	v_cmp_eq_u32_e32 vcc_lo, s61, v3
	v_cndmask_b32_e32 v3, v27, v26, vcc_lo
	v_cmp_eq_u32_e32 vcc_lo, s61, v30
	v_add_nc_u64_e32 v[26:27], 2, v[24:25]
	v_cndmask_b32_e32 v21, v31, v21, vcc_lo
	s_delay_alu instid0(VALU_DEP_4) | instskip(NEXT) | instid1(VALU_DEP_3)
	v_cmp_ne_u32_e32 vcc_lo, 0, v3
	v_cndmask_b32_e32 v3, v29, v27, vcc_lo
	s_delay_alu instid0(VALU_DEP_3) | instskip(SKIP_1) | instid1(VALU_DEP_1)
	v_cmp_ne_u32_e64 s0, 0, v21
	v_dual_cndmask_b32 v21, v28, v26, vcc_lo :: v_dual_bitop2_b32 v20, s58, v20 bitop3:0x14
	v_dual_cndmask_b32 v3, v25, v3, s0 :: v_dual_cndmask_b32 v24, v24, v21, s0
	s_delay_alu instid0(VALU_DEP_1) | instskip(NEXT) | instid1(VALU_DEP_2)
	v_dual_mov_b32 v21, v20 :: v_dual_bitop2_b32 v25, v3, v20 bitop3:0x14
	v_xor_b32_e32 v24, v24, v20
	s_delay_alu instid0(VALU_DEP_1)
	v_sub_nc_u64_e32 v[20:21], v[24:25], v[20:21]
.LBB6_38:                               ;   in Loop: Header=BB6_4 Depth=1
	s_and_not1_saveexec_b32 s0, s1
	s_cbranch_execz .LBB6_40
; %bb.39:                               ;   in Loop: Header=BB6_4 Depth=1
	v_cvt_f32_u32_e32 v3, s40
	s_sub_co_i32 s1, 0, s40
	s_delay_alu instid0(VALU_DEP_1) | instskip(SKIP_1) | instid1(TRANS32_DEP_1)
	v_rcp_iflag_f32_e32 v3, v3
	v_nop
	v_mul_f32_e32 v3, 0x4f7ffffe, v3
	s_delay_alu instid0(VALU_DEP_1) | instskip(NEXT) | instid1(VALU_DEP_1)
	v_cvt_u32_f32_e32 v3, v3
	v_mul_lo_u32 v20, s1, v3
	s_delay_alu instid0(VALU_DEP_1) | instskip(NEXT) | instid1(VALU_DEP_1)
	v_mul_hi_u32 v20, v3, v20
	v_add_nc_u32_e32 v3, v3, v20
	s_delay_alu instid0(VALU_DEP_1) | instskip(NEXT) | instid1(VALU_DEP_1)
	v_mul_hi_u32 v3, v12, v3
	v_mul_lo_u32 v20, v3, s40
	s_delay_alu instid0(VALU_DEP_1) | instskip(NEXT) | instid1(VALU_DEP_1)
	v_sub_nc_u32_e32 v20, v12, v20
	v_subrev_nc_u32_e32 v24, s40, v20
	v_cmp_le_u32_e32 vcc_lo, s40, v20
	s_delay_alu instid0(VALU_DEP_2) | instskip(NEXT) | instid1(VALU_DEP_1)
	v_dual_cndmask_b32 v20, v20, v24 :: v_dual_add_nc_u32 v21, 1, v3
	v_cndmask_b32_e32 v3, v3, v21, vcc_lo
	s_delay_alu instid0(VALU_DEP_2) | instskip(NEXT) | instid1(VALU_DEP_2)
	v_cmp_le_u32_e32 vcc_lo, s40, v20
	v_add_nc_u32_e32 v21, 1, v3
	s_delay_alu instid0(VALU_DEP_1)
	v_dual_cndmask_b32 v20, v3, v21 :: v_dual_mov_b32 v21, v2
.LBB6_40:                               ;   in Loop: Header=BB6_4 Depth=1
	s_or_b32 exec_lo, exec_lo, s0
	s_delay_alu instid0(VALU_DEP_1) | instskip(SKIP_2) | instid1(VALU_DEP_1)
	v_add_nc_u64_e32 v[20:21], 1, v[20:21]
	s_mov_b32 s0, 0
	s_mov_b32 s31, exec_lo
	v_min_i64 v[20:21], v[20:21], s[48:49]
	s_delay_alu instid0(VALU_DEP_1)
	v_cmpx_lt_i64_e64 v[18:19], v[20:21]
	s_cbranch_execz .LBB6_3
; %bb.41:                               ;   in Loop: Header=BB6_4 Depth=1
	v_mul_u64_e32 v[26:27], s[42:43], v[10:11]
	v_add_nc_u64_e32 v[22:23], 1, v[22:23]
	v_mad_nc_u64_u32 v[24:25], v4, s8, s[6:7]
	v_mul_u64_e32 v[14:15], s[16:17], v[14:15]
	v_add_nc_u64_e32 v[28:29], s[38:39], v[0:1]
	s_mov_b32 s65, 0
	s_mov_b32 s62, 0
                                        ; implicit-def: $sgpr63
                                        ; implicit-def: $sgpr64
	s_delay_alu instid0(VALU_DEP_4) | instskip(NEXT) | instid1(VALU_DEP_4)
	v_min_i64 v[22:23], v[22:23], s[50:51]
	v_mad_u32 v3, v5, s8, v25
	s_delay_alu instid0(VALU_DEP_1) | instskip(NEXT) | instid1(VALU_DEP_4)
	v_mad_u32 v25, v4, s9, v3
	v_sub_nc_u64_e32 v[26:27], v[28:29], v[26:27]
	s_delay_alu instid0(VALU_DEP_1) | instskip(SKIP_1) | instid1(VALU_DEP_2)
	v_sub_nc_u64_e32 v[16:17], v[26:27], v[16:17]
	v_cmp_lt_i64_e64 s0, v[10:11], v[22:23]
	v_sub_nc_u64_e32 v[8:9], v[16:17], v[8:9]
	s_branch .LBB6_44
.LBB6_42:                               ;   in Loop: Header=BB6_44 Depth=2
	s_or_b32 exec_lo, exec_lo, s67
	s_delay_alu instid0(SALU_CYCLE_1) | instskip(SKIP_1) | instid1(SALU_CYCLE_1)
	s_and_not1_b32 s1, s64, exec_lo
	s_and_b32 s2, s68, exec_lo
	s_or_b32 s64, s1, s2
.LBB6_43:                               ;   in Loop: Header=BB6_44 Depth=2
	s_or_b32 exec_lo, exec_lo, s66
	v_add_nc_u64_e32 v[18:19], 1, v[18:19]
	s_mov_b32 s65, s64
	s_delay_alu instid0(VALU_DEP_1) | instskip(SKIP_3) | instid1(SALU_CYCLE_1)
	v_cmp_ge_i64_e32 vcc_lo, v[18:19], v[20:21]
	s_or_b32 s62, vcc_lo, s62
	s_and_not1_b32 s1, s63, exec_lo
	s_and_b32 s2, s64, exec_lo
	s_or_b32 s63, s1, s2
	s_and_not1_b32 exec_lo, exec_lo, s62
	s_cbranch_execz .LBB6_2
.LBB6_44:                               ;   Parent Loop BB6_4 Depth=1
                                        ; =>  This Loop Header: Depth=2
                                        ;       Child Loop BB6_52 Depth 3
	s_and_not1_b32 s1, s64, exec_lo
	s_and_b32 s2, s65, exec_lo
	s_delay_alu instid0(SALU_CYCLE_1) | instskip(NEXT) | instid1(VALU_DEP_2)
	s_or_b32 s64, s1, s2
	s_and_saveexec_b32 s66, s0
	s_cbranch_execz .LBB6_43
; %bb.45:                               ;   in Loop: Header=BB6_44 Depth=2
	v_mul_u64_e32 v[16:17], s[40:41], v[18:19]
	s_mov_b32 s1, exec_lo
	s_delay_alu instid0(VALU_DEP_1) | instskip(NEXT) | instid1(VALU_DEP_1)
	v_sub_nc_u64_e32 v[26:27], v[12:13], v[16:17]
                                        ; implicit-def: $vgpr16_vgpr17
	v_or_b32_e32 v3, s45, v27
	s_delay_alu instid0(VALU_DEP_1)
	v_cmpx_ne_u64_e32 0, v[2:3]
	s_xor_b32 s67, exec_lo, s1
	s_cbranch_execz .LBB6_47
; %bb.46:                               ;   in Loop: Header=BB6_44 Depth=2
	s_ashr_i32 s58, s45, 31
	v_dual_mov_b32 v31, v2 :: v_dual_ashrrev_i32 v16, 31, v27
	s_mov_b32 s59, s58
	v_mov_b32_e32 v37, v2
	s_add_nc_u64 s[60:61], s[44:45], s[58:59]
	s_delay_alu instid0(VALU_DEP_2)
	v_mov_b32_e32 v17, v16
	s_xor_b64 s[60:61], s[60:61], s[58:59]
	v_mov_b32_e32 v41, v2
	s_cvt_f32_u32 s1, s60
	s_cvt_f32_u32 s2, s61
	s_sub_nc_u64 s[70:71], 0, s[60:61]
	v_add_nc_u64_e32 v[28:29], v[26:27], v[16:17]
	s_delay_alu instid0(SALU_CYCLE_1) | instskip(NEXT) | instid1(SALU_CYCLE_3)
	s_fmamk_f32 s1, s2, 0x4f800000, s1
	v_s_rcp_f32 s1, s1
	s_delay_alu instid0(VALU_DEP_1) | instskip(NEXT) | instid1(VALU_DEP_2)
	v_xor_b32_e32 v30, v28, v16
	v_xor_b32_e32 v36, v29, v16
	s_delay_alu instid0(TRANS32_DEP_1) | instskip(NEXT) | instid1(SALU_CYCLE_3)
	s_mul_f32 s1, s1, 0x5f7ffffc
	s_mul_f32 s2, s1, 0x2f800000
	s_delay_alu instid0(SALU_CYCLE_3) | instskip(NEXT) | instid1(SALU_CYCLE_3)
	s_trunc_f32 s2, s2
	s_fmamk_f32 s1, s2, 0xcf800000, s1
	s_cvt_u32_f32 s69, s2
	s_delay_alu instid0(SALU_CYCLE_2) | instskip(NEXT) | instid1(SALU_CYCLE_3)
	s_cvt_u32_f32 s68, s1
	s_mul_u64 s[72:73], s[70:71], s[68:69]
	s_delay_alu instid0(SALU_CYCLE_1)
	s_mul_hi_u32 s75, s68, s73
	s_mul_i32 s74, s68, s73
	s_mul_hi_u32 s2, s68, s72
	s_mul_i32 s59, s69, s72
	s_add_nc_u64 s[74:75], s[2:3], s[74:75]
	s_mul_hi_u32 s1, s69, s72
	s_mul_hi_u32 s76, s69, s73
	s_add_co_u32 s2, s74, s59
	s_add_co_ci_u32 s2, s75, s1
	s_mul_i32 s72, s69, s73
	s_add_co_ci_u32 s73, s76, 0
	s_delay_alu instid0(SALU_CYCLE_1) | instskip(NEXT) | instid1(SALU_CYCLE_1)
	s_add_nc_u64 s[72:73], s[2:3], s[72:73]
	s_add_co_u32 s68, s68, s72
	s_cselect_b32 s1, -1, 0
	s_delay_alu instid0(SALU_CYCLE_1) | instskip(SKIP_1) | instid1(SALU_CYCLE_1)
	s_cmp_lg_u32 s1, 0
	s_add_co_ci_u32 s69, s69, s73
	s_mul_u64 s[70:71], s[70:71], s[68:69]
	s_delay_alu instid0(SALU_CYCLE_1)
	s_mul_hi_u32 s73, s68, s71
	s_mul_i32 s72, s68, s71
	s_mul_hi_u32 s2, s68, s70
	s_mul_i32 s59, s69, s70
	s_add_nc_u64 s[72:73], s[2:3], s[72:73]
	s_mul_hi_u32 s1, s69, s70
	s_mul_hi_u32 s74, s69, s71
	s_add_co_u32 s2, s72, s59
	s_add_co_ci_u32 s2, s73, s1
	s_mul_i32 s70, s69, s71
	s_add_co_ci_u32 s71, s74, 0
	s_delay_alu instid0(SALU_CYCLE_1) | instskip(NEXT) | instid1(SALU_CYCLE_1)
	s_add_nc_u64 s[70:71], s[2:3], s[70:71]
	s_add_co_u32 s68, s68, s70
	s_cselect_b32 s1, -1, 0
	v_mul_hi_u32 v40, v30, s68
	s_cmp_lg_u32 s1, 0
	s_add_co_ci_u32 s2, s69, s71
	s_and_b64 s[70:71], s[68:69], s[28:29]
	v_mul_u64_e32 v[34:35], s[2:3], v[30:31]
	v_mul_u64_e32 v[28:29], s[70:71], v[36:37]
	;; [unrolled: 1-line block ×3, first 2 shown]
	s_delay_alu instid0(VALU_DEP_3) | instskip(NEXT) | instid1(VALU_DEP_1)
	v_add_nc_u64_e32 v[34:35], v[40:41], v[34:35]
	v_add_co_u32 v3, vcc_lo, v34, v28
	s_delay_alu instid0(VALU_DEP_2) | instskip(NEXT) | instid1(VALU_DEP_4)
	v_add_co_ci_u32_e32 v40, vcc_lo, v35, v29, vcc_lo
	v_add_co_ci_u32_e32 v39, vcc_lo, 0, v39, vcc_lo
	s_delay_alu instid0(VALU_DEP_1) | instskip(NEXT) | instid1(VALU_DEP_1)
	v_add_nc_u64_e32 v[28:29], v[40:41], v[38:39]
	v_mul_u64_e32 v[34:35], s[60:61], v[28:29]
	s_delay_alu instid0(VALU_DEP_1) | instskip(NEXT) | instid1(VALU_DEP_2)
	v_sub_nc_u32_e32 v3, v36, v35
	v_sub_co_u32 v17, vcc_lo, v30, v34
	s_delay_alu instid0(VALU_DEP_1) | instskip(NEXT) | instid1(VALU_DEP_3)
	v_sub_co_ci_u32_e64 v33, null, v36, v35, vcc_lo
	v_subrev_co_ci_u32_e64 v3, null, s61, v3, vcc_lo
	s_delay_alu instid0(VALU_DEP_3) | instskip(SKIP_1) | instid1(VALU_DEP_3)
	v_sub_co_u32 v30, s1, v17, s60
	v_add_nc_u64_e32 v[34:35], 1, v[28:29]
	v_subrev_co_ci_u32_e64 v3, null, 0, v3, s1
	s_delay_alu instid0(VALU_DEP_3) | instskip(SKIP_1) | instid1(VALU_DEP_3)
	v_cmp_le_u32_e32 vcc_lo, s60, v30
	v_cndmask_b32_e64 v30, 0, -1, vcc_lo
	v_cmp_le_u32_e32 vcc_lo, s61, v3
	v_cndmask_b32_e64 v31, 0, -1, vcc_lo
	v_cmp_le_u32_e32 vcc_lo, s60, v17
	v_cndmask_b32_e64 v17, 0, -1, vcc_lo
	v_cmp_le_u32_e32 vcc_lo, s61, v33
	v_cndmask_b32_e64 v36, 0, -1, vcc_lo
	v_cmp_eq_u32_e32 vcc_lo, s61, v3
	v_cndmask_b32_e32 v3, v31, v30, vcc_lo
	v_cmp_eq_u32_e32 vcc_lo, s61, v33
	v_add_nc_u64_e32 v[30:31], 2, v[28:29]
	v_cndmask_b32_e32 v17, v36, v17, vcc_lo
	s_delay_alu instid0(VALU_DEP_4) | instskip(NEXT) | instid1(VALU_DEP_2)
	v_cmp_ne_u32_e32 vcc_lo, 0, v3
	v_cmp_ne_u32_e64 s1, 0, v17
	s_delay_alu instid0(VALU_DEP_4) | instskip(NEXT) | instid1(VALU_DEP_1)
	v_dual_cndmask_b32 v3, v35, v31, vcc_lo :: v_dual_cndmask_b32 v17, v34, v30, vcc_lo
	v_dual_cndmask_b32 v3, v29, v3, s1 :: v_dual_bitop2_b32 v16, s58, v16 bitop3:0x14
	s_delay_alu instid0(VALU_DEP_2) | instskip(NEXT) | instid1(VALU_DEP_2)
	v_cndmask_b32_e64 v28, v28, v17, s1
	v_dual_mov_b32 v17, v16 :: v_dual_bitop2_b32 v29, v3, v16 bitop3:0x14
	s_delay_alu instid0(VALU_DEP_2) | instskip(NEXT) | instid1(VALU_DEP_1)
	v_xor_b32_e32 v28, v28, v16
	v_sub_nc_u64_e32 v[16:17], v[28:29], v[16:17]
.LBB6_47:                               ;   in Loop: Header=BB6_44 Depth=2
	s_and_not1_saveexec_b32 s1, s67
	s_cbranch_execz .LBB6_49
; %bb.48:                               ;   in Loop: Header=BB6_44 Depth=2
	v_cvt_f32_u32_e32 v3, s44
	s_sub_co_i32 s2, 0, s44
	s_delay_alu instid0(VALU_DEP_1) | instskip(SKIP_1) | instid1(TRANS32_DEP_1)
	v_rcp_iflag_f32_e32 v3, v3
	v_nop
	v_mul_f32_e32 v3, 0x4f7ffffe, v3
	s_delay_alu instid0(VALU_DEP_1) | instskip(NEXT) | instid1(VALU_DEP_1)
	v_cvt_u32_f32_e32 v3, v3
	v_mul_lo_u32 v16, s2, v3
	s_delay_alu instid0(VALU_DEP_1) | instskip(NEXT) | instid1(VALU_DEP_1)
	v_mul_hi_u32 v16, v3, v16
	v_add_nc_u32_e32 v3, v3, v16
	s_delay_alu instid0(VALU_DEP_1) | instskip(NEXT) | instid1(VALU_DEP_1)
	v_mul_hi_u32 v3, v26, v3
	v_mul_lo_u32 v16, v3, s44
	s_delay_alu instid0(VALU_DEP_1) | instskip(NEXT) | instid1(VALU_DEP_1)
	v_sub_nc_u32_e32 v16, v26, v16
	v_subrev_nc_u32_e32 v28, s44, v16
	v_cmp_le_u32_e32 vcc_lo, s44, v16
	s_delay_alu instid0(VALU_DEP_2) | instskip(NEXT) | instid1(VALU_DEP_1)
	v_dual_cndmask_b32 v16, v16, v28 :: v_dual_add_nc_u32 v17, 1, v3
	v_cndmask_b32_e32 v3, v3, v17, vcc_lo
	s_delay_alu instid0(VALU_DEP_2) | instskip(NEXT) | instid1(VALU_DEP_2)
	v_cmp_le_u32_e32 vcc_lo, s44, v16
	v_add_nc_u32_e32 v17, 1, v3
	s_delay_alu instid0(VALU_DEP_1)
	v_dual_cndmask_b32 v16, v3, v17 :: v_dual_mov_b32 v17, v2
.LBB6_49:                               ;   in Loop: Header=BB6_44 Depth=2
	s_or_b32 exec_lo, exec_lo, s1
	s_delay_alu instid0(VALU_DEP_1) | instskip(SKIP_2) | instid1(VALU_DEP_1)
	v_mul_u64_e32 v[28:29], s[44:45], v[16:17]
	v_add_nc_u64_e32 v[16:17], v[16:17], v[14:15]
	s_mov_b32 s67, 0
                                        ; implicit-def: $sgpr68
	v_mul_u64_e32 v[16:17], s[18:19], v[16:17]
	s_delay_alu instid0(VALU_DEP_3) | instskip(SKIP_1) | instid1(VALU_DEP_2)
	v_sub_nc_u64_e32 v[26:27], v[26:27], v[28:29]
	v_mov_b64_e32 v[28:29], v[10:11]
	v_cmp_eq_u64_e64 s1, 0, v[26:27]
	v_mov_b64_e32 v[26:27], v[8:9]
	s_branch .LBB6_52
.LBB6_50:                               ;   in Loop: Header=BB6_52 Depth=3
	s_or_b32 exec_lo, exec_lo, s2
	s_delay_alu instid0(SALU_CYCLE_1) | instskip(SKIP_1) | instid1(SALU_CYCLE_1)
	s_and_not1_b32 s2, s65, exec_lo
	s_and_b32 s58, s58, exec_lo
	s_or_b32 s65, s2, s58
.LBB6_51:                               ;   in Loop: Header=BB6_52 Depth=3
	s_or_b32 exec_lo, exec_lo, s69
	v_add_nc_u64_e32 v[28:29], 1, v[28:29]
	s_delay_alu instid0(VALU_DEP_2) | instskip(NEXT) | instid1(VALU_DEP_2)
	v_sub_nc_u64_e64 v[26:27], v[26:27], s[42:43]
	v_cmp_ge_i64_e32 vcc_lo, v[28:29], v[22:23]
	s_or_b32 s67, vcc_lo, s67
	s_and_not1_b32 s2, s68, exec_lo
	s_and_b32 s58, s65, exec_lo
	s_delay_alu instid0(SALU_CYCLE_1)
	s_or_b32 s68, s2, s58
	s_and_not1_b32 exec_lo, exec_lo, s67
	s_cbranch_execz .LBB6_42
.LBB6_52:                               ;   Parent Loop BB6_4 Depth=1
                                        ;     Parent Loop BB6_44 Depth=2
                                        ; =>    This Inner Loop Header: Depth=3
	s_delay_alu instid0(VALU_DEP_2)
	s_and_saveexec_b32 s69, s1
	s_cbranch_execz .LBB6_51
; %bb.53:                               ;   in Loop: Header=BB6_52 Depth=3
	s_delay_alu instid0(VALU_DEP_1) | instskip(SKIP_1) | instid1(VALU_DEP_1)
	v_or_b32_e32 v3, s47, v27
                                        ; implicit-def: $vgpr30_vgpr31
	s_mov_b32 s2, exec_lo
	v_cmpx_ne_u64_e32 0, v[2:3]
	s_xor_b32 s70, exec_lo, s2
	s_cbranch_execz .LBB6_55
; %bb.54:                               ;   in Loop: Header=BB6_52 Depth=3
	s_ashr_i32 s58, s47, 31
	v_dual_mov_b32 v37, v2 :: v_dual_ashrrev_i32 v30, 31, v27
	s_mov_b32 s59, s58
	v_mov_b32_e32 v41, v2
	s_add_nc_u64 s[60:61], s[46:47], s[58:59]
	s_delay_alu instid0(VALU_DEP_2)
	v_mov_b32_e32 v31, v30
	s_xor_b64 s[60:61], s[60:61], s[58:59]
	v_mov_b32_e32 v45, v2
	s_cvt_f32_u32 s2, s60
	s_cvt_f32_u32 s59, s61
	s_sub_nc_u64 s[74:75], 0, s[60:61]
	v_add_nc_u64_e32 v[34:35], v[26:27], v[30:31]
	s_delay_alu instid0(SALU_CYCLE_1) | instskip(NEXT) | instid1(SALU_CYCLE_3)
	s_fmamk_f32 s2, s59, 0x4f800000, s2
	v_s_rcp_f32 s2, s2
	s_delay_alu instid0(VALU_DEP_1) | instskip(NEXT) | instid1(VALU_DEP_2)
	v_xor_b32_e32 v40, v35, v30
	v_xor_b32_e32 v36, v34, v30
	s_delay_alu instid0(TRANS32_DEP_1) | instskip(NEXT) | instid1(SALU_CYCLE_3)
	s_mul_f32 s2, s2, 0x5f7ffffc
	s_mul_f32 s59, s2, 0x2f800000
	s_delay_alu instid0(SALU_CYCLE_3) | instskip(NEXT) | instid1(SALU_CYCLE_3)
	s_trunc_f32 s59, s59
	s_fmamk_f32 s2, s59, 0xcf800000, s2
	s_cvt_u32_f32 s73, s59
	s_delay_alu instid0(SALU_CYCLE_2) | instskip(NEXT) | instid1(SALU_CYCLE_3)
	s_cvt_u32_f32 s72, s2
	s_mul_u64 s[76:77], s[74:75], s[72:73]
	s_delay_alu instid0(SALU_CYCLE_1)
	s_mul_hi_u32 s79, s72, s77
	s_mul_i32 s78, s72, s77
	s_mul_hi_u32 s2, s72, s76
	s_mul_i32 s71, s73, s76
	s_add_nc_u64 s[78:79], s[2:3], s[78:79]
	s_mul_hi_u32 s59, s73, s76
	s_mul_hi_u32 s80, s73, s77
	s_add_co_u32 s2, s78, s71
	s_add_co_ci_u32 s2, s79, s59
	s_mul_i32 s76, s73, s77
	s_add_co_ci_u32 s77, s80, 0
	s_delay_alu instid0(SALU_CYCLE_1) | instskip(NEXT) | instid1(SALU_CYCLE_1)
	s_add_nc_u64 s[76:77], s[2:3], s[76:77]
	s_add_co_u32 s72, s72, s76
	s_cselect_b32 s2, -1, 0
	s_delay_alu instid0(SALU_CYCLE_1) | instskip(SKIP_1) | instid1(SALU_CYCLE_1)
	s_cmp_lg_u32 s2, 0
	s_add_co_ci_u32 s73, s73, s77
	s_mul_u64 s[74:75], s[74:75], s[72:73]
	s_delay_alu instid0(SALU_CYCLE_1)
	s_mul_hi_u32 s77, s72, s75
	s_mul_i32 s76, s72, s75
	s_mul_hi_u32 s2, s72, s74
	s_mul_i32 s71, s73, s74
	s_add_nc_u64 s[76:77], s[2:3], s[76:77]
	s_mul_hi_u32 s59, s73, s74
	s_mul_hi_u32 s78, s73, s75
	s_add_co_u32 s2, s76, s71
	s_add_co_ci_u32 s2, s77, s59
	s_mul_i32 s74, s73, s75
	s_add_co_ci_u32 s75, s78, 0
	s_delay_alu instid0(SALU_CYCLE_1) | instskip(NEXT) | instid1(SALU_CYCLE_1)
	s_add_nc_u64 s[74:75], s[2:3], s[74:75]
	s_add_co_u32 s72, s72, s74
	s_cselect_b32 s2, -1, 0
	v_mul_hi_u32 v44, v36, s72
	s_cmp_lg_u32 s2, 0
	s_add_co_ci_u32 s2, s73, s75
	s_and_b64 s[74:75], s[72:73], s[28:29]
	v_mul_u64_e32 v[38:39], s[2:3], v[36:37]
	v_mul_u64_e32 v[34:35], s[74:75], v[40:41]
	v_mul_u64_e32 v[42:43], s[2:3], v[40:41]
	s_delay_alu instid0(VALU_DEP_3) | instskip(NEXT) | instid1(VALU_DEP_1)
	v_add_nc_u64_e32 v[38:39], v[44:45], v[38:39]
	v_add_co_u32 v3, vcc_lo, v38, v34
	s_delay_alu instid0(VALU_DEP_2) | instskip(NEXT) | instid1(VALU_DEP_4)
	v_add_co_ci_u32_e32 v44, vcc_lo, v39, v35, vcc_lo
	v_add_co_ci_u32_e32 v43, vcc_lo, 0, v43, vcc_lo
	s_delay_alu instid0(VALU_DEP_1) | instskip(NEXT) | instid1(VALU_DEP_1)
	v_add_nc_u64_e32 v[34:35], v[44:45], v[42:43]
	v_mul_u64_e32 v[38:39], s[60:61], v[34:35]
	s_delay_alu instid0(VALU_DEP_1) | instskip(NEXT) | instid1(VALU_DEP_2)
	v_sub_nc_u32_e32 v3, v40, v39
	v_sub_co_u32 v31, vcc_lo, v36, v38
	s_delay_alu instid0(VALU_DEP_1) | instskip(NEXT) | instid1(VALU_DEP_3)
	v_sub_co_ci_u32_e64 v40, null, v40, v39, vcc_lo
	v_subrev_co_ci_u32_e64 v3, null, s61, v3, vcc_lo
	s_delay_alu instid0(VALU_DEP_3) | instskip(SKIP_1) | instid1(VALU_DEP_3)
	v_sub_co_u32 v33, s2, v31, s60
	v_add_nc_u64_e32 v[38:39], 1, v[34:35]
	v_subrev_co_ci_u32_e64 v3, null, 0, v3, s2
	s_delay_alu instid0(VALU_DEP_3) | instskip(SKIP_1) | instid1(VALU_DEP_3)
	v_cmp_le_u32_e32 vcc_lo, s60, v33
	v_cndmask_b32_e64 v33, 0, -1, vcc_lo
	v_cmp_le_u32_e32 vcc_lo, s61, v3
	v_cndmask_b32_e64 v36, 0, -1, vcc_lo
	;; [unrolled: 2-line block ×4, first 2 shown]
	v_cmp_eq_u32_e32 vcc_lo, s61, v3
	v_cndmask_b32_e32 v3, v36, v33, vcc_lo
	v_cmp_eq_u32_e32 vcc_lo, s61, v40
	v_add_nc_u64_e32 v[36:37], 2, v[34:35]
	v_cndmask_b32_e32 v31, v41, v31, vcc_lo
	s_delay_alu instid0(VALU_DEP_4) | instskip(NEXT) | instid1(VALU_DEP_2)
	v_cmp_ne_u32_e32 vcc_lo, 0, v3
	v_cmp_ne_u32_e64 s2, 0, v31
	s_delay_alu instid0(VALU_DEP_4) | instskip(NEXT) | instid1(VALU_DEP_1)
	v_dual_cndmask_b32 v3, v39, v37, vcc_lo :: v_dual_cndmask_b32 v31, v38, v36, vcc_lo
	v_dual_cndmask_b32 v3, v35, v3, s2 :: v_dual_bitop2_b32 v30, s58, v30 bitop3:0x14
	s_delay_alu instid0(VALU_DEP_1) | instskip(NEXT) | instid1(VALU_DEP_1)
	v_dual_cndmask_b32 v33, v34, v31, s2 :: v_dual_bitop2_b32 v35, v3, v30 bitop3:0x14
	v_dual_mov_b32 v31, v30 :: v_dual_bitop2_b32 v34, v33, v30 bitop3:0x14
	s_delay_alu instid0(VALU_DEP_1)
	v_sub_nc_u64_e32 v[30:31], v[34:35], v[30:31]
.LBB6_55:                               ;   in Loop: Header=BB6_52 Depth=3
	s_and_not1_saveexec_b32 s2, s70
	s_cbranch_execz .LBB6_57
; %bb.56:                               ;   in Loop: Header=BB6_52 Depth=3
	v_cvt_f32_u32_e32 v3, s46
	s_sub_co_i32 s58, 0, s46
	s_delay_alu instid0(VALU_DEP_1) | instskip(SKIP_1) | instid1(TRANS32_DEP_1)
	v_rcp_iflag_f32_e32 v3, v3
	v_nop
	v_mul_f32_e32 v3, 0x4f7ffffe, v3
	s_delay_alu instid0(VALU_DEP_1) | instskip(NEXT) | instid1(VALU_DEP_1)
	v_cvt_u32_f32_e32 v3, v3
	v_mul_lo_u32 v30, s58, v3
	s_delay_alu instid0(VALU_DEP_1) | instskip(NEXT) | instid1(VALU_DEP_1)
	v_mul_hi_u32 v30, v3, v30
	v_add_nc_u32_e32 v3, v3, v30
	s_delay_alu instid0(VALU_DEP_1) | instskip(NEXT) | instid1(VALU_DEP_1)
	v_mul_hi_u32 v3, v26, v3
	v_mul_lo_u32 v30, v3, s46
	s_delay_alu instid0(VALU_DEP_1) | instskip(NEXT) | instid1(VALU_DEP_1)
	v_dual_add_nc_u32 v31, 1, v3 :: v_dual_sub_nc_u32 v30, v26, v30
	v_subrev_nc_u32_e32 v33, s46, v30
	v_cmp_le_u32_e32 vcc_lo, s46, v30
	s_delay_alu instid0(VALU_DEP_2) | instskip(NEXT) | instid1(VALU_DEP_1)
	v_dual_cndmask_b32 v30, v30, v33 :: v_dual_cndmask_b32 v3, v3, v31
	v_cmp_le_u32_e32 vcc_lo, s46, v30
	s_delay_alu instid0(VALU_DEP_2) | instskip(NEXT) | instid1(VALU_DEP_1)
	v_add_nc_u32_e32 v31, 1, v3
	v_dual_cndmask_b32 v30, v3, v31 :: v_dual_mov_b32 v31, v2
.LBB6_57:                               ;   in Loop: Header=BB6_52 Depth=3
	s_or_b32 exec_lo, exec_lo, s2
	s_delay_alu instid0(VALU_DEP_1) | instskip(SKIP_2) | instid1(VALU_DEP_1)
	v_mul_u64_e32 v[34:35], s[46:47], v[30:31]
	s_mov_b32 s58, s65
	s_mov_b32 s2, exec_lo
	v_sub_nc_u64_e32 v[34:35], v[26:27], v[34:35]
	s_delay_alu instid0(VALU_DEP_1)
	v_cmpx_eq_u64_e32 0, v[34:35]
	s_cbranch_execz .LBB6_50
; %bb.58:                               ;   in Loop: Header=BB6_52 Depth=3
	v_add_nc_u64_e32 v[30:31], v[16:17], v[30:31]
	s_and_not1_b32 s58, s65, exec_lo
	s_delay_alu instid0(VALU_DEP_1) | instskip(NEXT) | instid1(VALU_DEP_1)
	v_mad_nc_u64_u32 v[34:35], v30, s48, v[18:19]
	v_mad_u32 v3, v31, s48, v35
	s_delay_alu instid0(VALU_DEP_2) | instskip(NEXT) | instid1(VALU_DEP_2)
	v_mad_nc_u64_u32 v[36:37], s50, v34, v[28:29]
	v_mad_u32 v3, v30, s49, v3
	s_delay_alu instid0(VALU_DEP_2) | instskip(NEXT) | instid1(VALU_DEP_1)
	v_mad_u32 v30, s51, v34, v37
	v_mad_u32 v37, s50, v3, v30
	s_delay_alu instid0(VALU_DEP_1) | instskip(SKIP_4) | instid1(VALU_DEP_1)
	v_add_nc_u64_e32 v[30:31], v[24:25], v[36:37]
	global_load_u8 v3, v[30:31], off
	s_wait_xcnt 0x0
	v_cndmask_b32_e64 v30, 0, 1, s65
	s_wait_loadcnt 0x0
	v_or_b32_e32 v3, v3, v30
	s_delay_alu instid0(VALU_DEP_1) | instskip(SKIP_1) | instid1(SALU_CYCLE_1)
	v_cmp_ne_u16_e32 vcc_lo, 0, v3
	s_and_b32 s59, vcc_lo, exec_lo
	s_or_b32 s58, s58, s59
	s_branch .LBB6_50
.LBB6_59:
	s_endpgm
	.section	.rodata,"a",@progbits
	.p2align	6, 0x0
	.amdhsa_kernel _ZN2at6native21col2im_batched_kernelIbEEvlPKT_llllllllllllllPS2_l
		.amdhsa_group_segment_fixed_size 0
		.amdhsa_private_segment_fixed_size 0
		.amdhsa_kernarg_size 400
		.amdhsa_user_sgpr_count 2
		.amdhsa_user_sgpr_dispatch_ptr 0
		.amdhsa_user_sgpr_queue_ptr 0
		.amdhsa_user_sgpr_kernarg_segment_ptr 1
		.amdhsa_user_sgpr_dispatch_id 0
		.amdhsa_user_sgpr_kernarg_preload_length 0
		.amdhsa_user_sgpr_kernarg_preload_offset 0
		.amdhsa_user_sgpr_private_segment_size 0
		.amdhsa_wavefront_size32 1
		.amdhsa_uses_dynamic_stack 0
		.amdhsa_enable_private_segment 0
		.amdhsa_system_sgpr_workgroup_id_x 1
		.amdhsa_system_sgpr_workgroup_id_y 0
		.amdhsa_system_sgpr_workgroup_id_z 0
		.amdhsa_system_sgpr_workgroup_info 0
		.amdhsa_system_vgpr_workitem_id 0
		.amdhsa_next_free_vgpr 46
		.amdhsa_next_free_sgpr 81
		.amdhsa_named_barrier_count 0
		.amdhsa_reserve_vcc 1
		.amdhsa_float_round_mode_32 0
		.amdhsa_float_round_mode_16_64 0
		.amdhsa_float_denorm_mode_32 3
		.amdhsa_float_denorm_mode_16_64 3
		.amdhsa_fp16_overflow 0
		.amdhsa_memory_ordered 1
		.amdhsa_forward_progress 1
		.amdhsa_inst_pref_size 65
		.amdhsa_round_robin_scheduling 0
		.amdhsa_exception_fp_ieee_invalid_op 0
		.amdhsa_exception_fp_denorm_src 0
		.amdhsa_exception_fp_ieee_div_zero 0
		.amdhsa_exception_fp_ieee_overflow 0
		.amdhsa_exception_fp_ieee_underflow 0
		.amdhsa_exception_fp_ieee_inexact 0
		.amdhsa_exception_int_div_zero 0
	.end_amdhsa_kernel
	.section	.text._ZN2at6native21col2im_batched_kernelIbEEvlPKT_llllllllllllllPS2_l,"axG",@progbits,_ZN2at6native21col2im_batched_kernelIbEEvlPKT_llllllllllllllPS2_l,comdat
.Lfunc_end6:
	.size	_ZN2at6native21col2im_batched_kernelIbEEvlPKT_llllllllllllllPS2_l, .Lfunc_end6-_ZN2at6native21col2im_batched_kernelIbEEvlPKT_llllllllllllllPS2_l
                                        ; -- End function
	.set _ZN2at6native21col2im_batched_kernelIbEEvlPKT_llllllllllllllPS2_l.num_vgpr, 46
	.set _ZN2at6native21col2im_batched_kernelIbEEvlPKT_llllllllllllllPS2_l.num_agpr, 0
	.set _ZN2at6native21col2im_batched_kernelIbEEvlPKT_llllllllllllllPS2_l.numbered_sgpr, 81
	.set _ZN2at6native21col2im_batched_kernelIbEEvlPKT_llllllllllllllPS2_l.num_named_barrier, 0
	.set _ZN2at6native21col2im_batched_kernelIbEEvlPKT_llllllllllllllPS2_l.private_seg_size, 0
	.set _ZN2at6native21col2im_batched_kernelIbEEvlPKT_llllllllllllllPS2_l.uses_vcc, 1
	.set _ZN2at6native21col2im_batched_kernelIbEEvlPKT_llllllllllllllPS2_l.uses_flat_scratch, 0
	.set _ZN2at6native21col2im_batched_kernelIbEEvlPKT_llllllllllllllPS2_l.has_dyn_sized_stack, 0
	.set _ZN2at6native21col2im_batched_kernelIbEEvlPKT_llllllllllllllPS2_l.has_recursion, 0
	.set _ZN2at6native21col2im_batched_kernelIbEEvlPKT_llllllllllllllPS2_l.has_indirect_call, 0
	.section	.AMDGPU.csdata,"",@progbits
; Kernel info:
; codeLenInByte = 8312
; TotalNumSgprs: 83
; NumVgprs: 46
; ScratchSize: 0
; MemoryBound: 0
; FloatMode: 240
; IeeeMode: 1
; LDSByteSize: 0 bytes/workgroup (compile time only)
; SGPRBlocks: 0
; VGPRBlocks: 2
; NumSGPRsForWavesPerEU: 83
; NumVGPRsForWavesPerEU: 46
; NamedBarCnt: 0
; Occupancy: 16
; WaveLimiterHint : 0
; COMPUTE_PGM_RSRC2:SCRATCH_EN: 0
; COMPUTE_PGM_RSRC2:USER_SGPR: 2
; COMPUTE_PGM_RSRC2:TRAP_HANDLER: 0
; COMPUTE_PGM_RSRC2:TGID_X_EN: 1
; COMPUTE_PGM_RSRC2:TGID_Y_EN: 0
; COMPUTE_PGM_RSRC2:TGID_Z_EN: 0
; COMPUTE_PGM_RSRC2:TIDIG_COMP_CNT: 0
	.section	.AMDGPU.gpr_maximums,"",@progbits
	.set amdgpu.max_num_vgpr, 0
	.set amdgpu.max_num_agpr, 0
	.set amdgpu.max_num_sgpr, 0
	.section	.AMDGPU.csdata,"",@progbits
	.type	__hip_cuid_3acf0a6461f9316c,@object ; @__hip_cuid_3acf0a6461f9316c
	.section	.bss,"aw",@nobits
	.globl	__hip_cuid_3acf0a6461f9316c
__hip_cuid_3acf0a6461f9316c:
	.byte	0                               ; 0x0
	.size	__hip_cuid_3acf0a6461f9316c, 1

	.ident	"AMD clang version 22.0.0git (https://github.com/RadeonOpenCompute/llvm-project roc-7.2.4 26084 f58b06dce1f9c15707c5f808fd002e18c2accf7e)"
	.section	".note.GNU-stack","",@progbits
	.addrsig
	.addrsig_sym __hip_cuid_3acf0a6461f9316c
	.amdgpu_metadata
---
amdhsa.kernels:
  - .args:
      - .offset:         0
        .size:           8
        .value_kind:     by_value
      - .address_space:  global
        .offset:         8
        .size:           8
        .value_kind:     global_buffer
      - .offset:         16
        .size:           8
        .value_kind:     by_value
      - .offset:         24
        .size:           8
        .value_kind:     by_value
      - .offset:         32
        .size:           8
        .value_kind:     by_value
      - .offset:         40
        .size:           8
        .value_kind:     by_value
      - .offset:         48
        .size:           8
        .value_kind:     by_value
      - .offset:         56
        .size:           8
        .value_kind:     by_value
      - .offset:         64
        .size:           8
        .value_kind:     by_value
      - .offset:         72
        .size:           8
        .value_kind:     by_value
      - .offset:         80
        .size:           8
        .value_kind:     by_value
      - .offset:         88
        .size:           8
        .value_kind:     by_value
      - .offset:         96
        .size:           8
        .value_kind:     by_value
      - .offset:         104
        .size:           8
        .value_kind:     by_value
      - .offset:         112
        .size:           8
        .value_kind:     by_value
      - .offset:         120
        .size:           8
        .value_kind:     by_value
      - .address_space:  global
        .offset:         128
        .size:           8
        .value_kind:     global_buffer
      - .offset:         136
        .size:           8
        .value_kind:     by_value
      - .offset:         144
        .size:           4
        .value_kind:     hidden_block_count_x
      - .offset:         148
        .size:           4
        .value_kind:     hidden_block_count_y
      - .offset:         152
        .size:           4
        .value_kind:     hidden_block_count_z
      - .offset:         156
        .size:           2
        .value_kind:     hidden_group_size_x
      - .offset:         158
        .size:           2
        .value_kind:     hidden_group_size_y
      - .offset:         160
        .size:           2
        .value_kind:     hidden_group_size_z
      - .offset:         162
        .size:           2
        .value_kind:     hidden_remainder_x
      - .offset:         164
        .size:           2
        .value_kind:     hidden_remainder_y
      - .offset:         166
        .size:           2
        .value_kind:     hidden_remainder_z
      - .offset:         184
        .size:           8
        .value_kind:     hidden_global_offset_x
      - .offset:         192
        .size:           8
        .value_kind:     hidden_global_offset_y
      - .offset:         200
        .size:           8
        .value_kind:     hidden_global_offset_z
      - .offset:         208
        .size:           2
        .value_kind:     hidden_grid_dims
    .group_segment_fixed_size: 0
    .kernarg_segment_align: 8
    .kernarg_segment_size: 400
    .language:       OpenCL C
    .language_version:
      - 2
      - 0
    .max_flat_workgroup_size: 512
    .name:           _ZN2at6native21col2im_batched_kernelIdEEvlPKT_llllllllllllllPS2_l
    .private_segment_fixed_size: 0
    .sgpr_count:     81
    .sgpr_spill_count: 0
    .symbol:         _ZN2at6native21col2im_batched_kernelIdEEvlPKT_llllllllllllllPS2_l.kd
    .uniform_work_group_size: 1
    .uses_dynamic_stack: false
    .vgpr_count:     50
    .vgpr_spill_count: 0
    .wavefront_size: 32
  - .args:
      - .offset:         0
        .size:           8
        .value_kind:     by_value
      - .address_space:  global
        .offset:         8
        .size:           8
        .value_kind:     global_buffer
      - .offset:         16
        .size:           8
        .value_kind:     by_value
      - .offset:         24
        .size:           8
        .value_kind:     by_value
      - .offset:         32
        .size:           8
        .value_kind:     by_value
      - .offset:         40
        .size:           8
        .value_kind:     by_value
      - .offset:         48
        .size:           8
        .value_kind:     by_value
      - .offset:         56
        .size:           8
        .value_kind:     by_value
      - .offset:         64
        .size:           8
        .value_kind:     by_value
      - .offset:         72
        .size:           8
        .value_kind:     by_value
      - .offset:         80
        .size:           8
        .value_kind:     by_value
      - .offset:         88
        .size:           8
        .value_kind:     by_value
      - .offset:         96
        .size:           8
        .value_kind:     by_value
      - .offset:         104
        .size:           8
        .value_kind:     by_value
      - .offset:         112
        .size:           8
        .value_kind:     by_value
      - .offset:         120
        .size:           8
        .value_kind:     by_value
      - .address_space:  global
        .offset:         128
        .size:           8
        .value_kind:     global_buffer
      - .offset:         136
        .size:           8
        .value_kind:     by_value
      - .offset:         144
        .size:           4
        .value_kind:     hidden_block_count_x
      - .offset:         148
        .size:           4
        .value_kind:     hidden_block_count_y
      - .offset:         152
        .size:           4
        .value_kind:     hidden_block_count_z
      - .offset:         156
        .size:           2
        .value_kind:     hidden_group_size_x
      - .offset:         158
        .size:           2
        .value_kind:     hidden_group_size_y
      - .offset:         160
        .size:           2
        .value_kind:     hidden_group_size_z
      - .offset:         162
        .size:           2
        .value_kind:     hidden_remainder_x
      - .offset:         164
        .size:           2
        .value_kind:     hidden_remainder_y
      - .offset:         166
        .size:           2
        .value_kind:     hidden_remainder_z
      - .offset:         184
        .size:           8
        .value_kind:     hidden_global_offset_x
      - .offset:         192
        .size:           8
        .value_kind:     hidden_global_offset_y
      - .offset:         200
        .size:           8
        .value_kind:     hidden_global_offset_z
      - .offset:         208
        .size:           2
        .value_kind:     hidden_grid_dims
    .group_segment_fixed_size: 0
    .kernarg_segment_align: 8
    .kernarg_segment_size: 400
    .language:       OpenCL C
    .language_version:
      - 2
      - 0
    .max_flat_workgroup_size: 512
    .name:           _ZN2at6native21col2im_batched_kernelIfEEvlPKT_llllllllllllllPS2_l
    .private_segment_fixed_size: 0
    .sgpr_count:     81
    .sgpr_spill_count: 0
    .symbol:         _ZN2at6native21col2im_batched_kernelIfEEvlPKT_llllllllllllllPS2_l.kd
    .uniform_work_group_size: 1
    .uses_dynamic_stack: false
    .vgpr_count:     48
    .vgpr_spill_count: 0
    .wavefront_size: 32
  - .args:
      - .offset:         0
        .size:           8
        .value_kind:     by_value
      - .address_space:  global
        .offset:         8
        .size:           8
        .value_kind:     global_buffer
      - .offset:         16
        .size:           8
        .value_kind:     by_value
      - .offset:         24
        .size:           8
        .value_kind:     by_value
      - .offset:         32
        .size:           8
        .value_kind:     by_value
      - .offset:         40
        .size:           8
        .value_kind:     by_value
      - .offset:         48
        .size:           8
        .value_kind:     by_value
      - .offset:         56
        .size:           8
        .value_kind:     by_value
      - .offset:         64
        .size:           8
        .value_kind:     by_value
      - .offset:         72
        .size:           8
        .value_kind:     by_value
      - .offset:         80
        .size:           8
        .value_kind:     by_value
      - .offset:         88
        .size:           8
        .value_kind:     by_value
      - .offset:         96
        .size:           8
        .value_kind:     by_value
      - .offset:         104
        .size:           8
        .value_kind:     by_value
      - .offset:         112
        .size:           8
        .value_kind:     by_value
      - .offset:         120
        .size:           8
        .value_kind:     by_value
      - .address_space:  global
        .offset:         128
        .size:           8
        .value_kind:     global_buffer
      - .offset:         136
        .size:           8
        .value_kind:     by_value
      - .offset:         144
        .size:           4
        .value_kind:     hidden_block_count_x
      - .offset:         148
        .size:           4
        .value_kind:     hidden_block_count_y
      - .offset:         152
        .size:           4
        .value_kind:     hidden_block_count_z
      - .offset:         156
        .size:           2
        .value_kind:     hidden_group_size_x
      - .offset:         158
        .size:           2
        .value_kind:     hidden_group_size_y
      - .offset:         160
        .size:           2
        .value_kind:     hidden_group_size_z
      - .offset:         162
        .size:           2
        .value_kind:     hidden_remainder_x
      - .offset:         164
        .size:           2
        .value_kind:     hidden_remainder_y
      - .offset:         166
        .size:           2
        .value_kind:     hidden_remainder_z
      - .offset:         184
        .size:           8
        .value_kind:     hidden_global_offset_x
      - .offset:         192
        .size:           8
        .value_kind:     hidden_global_offset_y
      - .offset:         200
        .size:           8
        .value_kind:     hidden_global_offset_z
      - .offset:         208
        .size:           2
        .value_kind:     hidden_grid_dims
    .group_segment_fixed_size: 0
    .kernarg_segment_align: 8
    .kernarg_segment_size: 400
    .language:       OpenCL C
    .language_version:
      - 2
      - 0
    .max_flat_workgroup_size: 512
    .name:           _ZN2at6native21col2im_batched_kernelIN3c107complexIdEEEEvlPKT_llllllllllllllPS5_l
    .private_segment_fixed_size: 0
    .sgpr_count:     81
    .sgpr_spill_count: 0
    .symbol:         _ZN2at6native21col2im_batched_kernelIN3c107complexIdEEEEvlPKT_llllllllllllllPS5_l.kd
    .uniform_work_group_size: 1
    .uses_dynamic_stack: false
    .vgpr_count:     52
    .vgpr_spill_count: 0
    .wavefront_size: 32
  - .args:
      - .offset:         0
        .size:           8
        .value_kind:     by_value
      - .address_space:  global
        .offset:         8
        .size:           8
        .value_kind:     global_buffer
      - .offset:         16
        .size:           8
        .value_kind:     by_value
      - .offset:         24
        .size:           8
        .value_kind:     by_value
      - .offset:         32
        .size:           8
        .value_kind:     by_value
      - .offset:         40
        .size:           8
        .value_kind:     by_value
      - .offset:         48
        .size:           8
        .value_kind:     by_value
      - .offset:         56
        .size:           8
        .value_kind:     by_value
      - .offset:         64
        .size:           8
        .value_kind:     by_value
      - .offset:         72
        .size:           8
        .value_kind:     by_value
      - .offset:         80
        .size:           8
        .value_kind:     by_value
      - .offset:         88
        .size:           8
        .value_kind:     by_value
      - .offset:         96
        .size:           8
        .value_kind:     by_value
      - .offset:         104
        .size:           8
        .value_kind:     by_value
      - .offset:         112
        .size:           8
        .value_kind:     by_value
      - .offset:         120
        .size:           8
        .value_kind:     by_value
      - .address_space:  global
        .offset:         128
        .size:           8
        .value_kind:     global_buffer
      - .offset:         136
        .size:           8
        .value_kind:     by_value
      - .offset:         144
        .size:           4
        .value_kind:     hidden_block_count_x
      - .offset:         148
        .size:           4
        .value_kind:     hidden_block_count_y
      - .offset:         152
        .size:           4
        .value_kind:     hidden_block_count_z
      - .offset:         156
        .size:           2
        .value_kind:     hidden_group_size_x
      - .offset:         158
        .size:           2
        .value_kind:     hidden_group_size_y
      - .offset:         160
        .size:           2
        .value_kind:     hidden_group_size_z
      - .offset:         162
        .size:           2
        .value_kind:     hidden_remainder_x
      - .offset:         164
        .size:           2
        .value_kind:     hidden_remainder_y
      - .offset:         166
        .size:           2
        .value_kind:     hidden_remainder_z
      - .offset:         184
        .size:           8
        .value_kind:     hidden_global_offset_x
      - .offset:         192
        .size:           8
        .value_kind:     hidden_global_offset_y
      - .offset:         200
        .size:           8
        .value_kind:     hidden_global_offset_z
      - .offset:         208
        .size:           2
        .value_kind:     hidden_grid_dims
    .group_segment_fixed_size: 0
    .kernarg_segment_align: 8
    .kernarg_segment_size: 400
    .language:       OpenCL C
    .language_version:
      - 2
      - 0
    .max_flat_workgroup_size: 512
    .name:           _ZN2at6native21col2im_batched_kernelIN3c107complexIfEEEEvlPKT_llllllllllllllPS5_l
    .private_segment_fixed_size: 0
    .sgpr_count:     81
    .sgpr_spill_count: 0
    .symbol:         _ZN2at6native21col2im_batched_kernelIN3c107complexIfEEEEvlPKT_llllllllllllllPS5_l.kd
    .uniform_work_group_size: 1
    .uses_dynamic_stack: false
    .vgpr_count:     50
    .vgpr_spill_count: 0
    .wavefront_size: 32
  - .args:
      - .offset:         0
        .size:           8
        .value_kind:     by_value
      - .address_space:  global
        .offset:         8
        .size:           8
        .value_kind:     global_buffer
      - .offset:         16
        .size:           8
        .value_kind:     by_value
      - .offset:         24
        .size:           8
        .value_kind:     by_value
      - .offset:         32
        .size:           8
        .value_kind:     by_value
      - .offset:         40
        .size:           8
        .value_kind:     by_value
      - .offset:         48
        .size:           8
        .value_kind:     by_value
      - .offset:         56
        .size:           8
        .value_kind:     by_value
      - .offset:         64
        .size:           8
        .value_kind:     by_value
      - .offset:         72
        .size:           8
        .value_kind:     by_value
      - .offset:         80
        .size:           8
        .value_kind:     by_value
      - .offset:         88
        .size:           8
        .value_kind:     by_value
      - .offset:         96
        .size:           8
        .value_kind:     by_value
      - .offset:         104
        .size:           8
        .value_kind:     by_value
      - .offset:         112
        .size:           8
        .value_kind:     by_value
      - .offset:         120
        .size:           8
        .value_kind:     by_value
      - .address_space:  global
        .offset:         128
        .size:           8
        .value_kind:     global_buffer
      - .offset:         136
        .size:           8
        .value_kind:     by_value
      - .offset:         144
        .size:           4
        .value_kind:     hidden_block_count_x
      - .offset:         148
        .size:           4
        .value_kind:     hidden_block_count_y
      - .offset:         152
        .size:           4
        .value_kind:     hidden_block_count_z
      - .offset:         156
        .size:           2
        .value_kind:     hidden_group_size_x
      - .offset:         158
        .size:           2
        .value_kind:     hidden_group_size_y
      - .offset:         160
        .size:           2
        .value_kind:     hidden_group_size_z
      - .offset:         162
        .size:           2
        .value_kind:     hidden_remainder_x
      - .offset:         164
        .size:           2
        .value_kind:     hidden_remainder_y
      - .offset:         166
        .size:           2
        .value_kind:     hidden_remainder_z
      - .offset:         184
        .size:           8
        .value_kind:     hidden_global_offset_x
      - .offset:         192
        .size:           8
        .value_kind:     hidden_global_offset_y
      - .offset:         200
        .size:           8
        .value_kind:     hidden_global_offset_z
      - .offset:         208
        .size:           2
        .value_kind:     hidden_grid_dims
    .group_segment_fixed_size: 0
    .kernarg_segment_align: 8
    .kernarg_segment_size: 400
    .language:       OpenCL C
    .language_version:
      - 2
      - 0
    .max_flat_workgroup_size: 512
    .name:           _ZN2at6native21col2im_batched_kernelIN3c104HalfEEEvlPKT_llllllllllllllPS4_l
    .private_segment_fixed_size: 0
    .sgpr_count:     81
    .sgpr_spill_count: 0
    .symbol:         _ZN2at6native21col2im_batched_kernelIN3c104HalfEEEvlPKT_llllllllllllllPS4_l.kd
    .uniform_work_group_size: 1
    .uses_dynamic_stack: false
    .vgpr_count:     48
    .vgpr_spill_count: 0
    .wavefront_size: 32
  - .args:
      - .offset:         0
        .size:           8
        .value_kind:     by_value
      - .address_space:  global
        .offset:         8
        .size:           8
        .value_kind:     global_buffer
      - .offset:         16
        .size:           8
        .value_kind:     by_value
      - .offset:         24
        .size:           8
        .value_kind:     by_value
      - .offset:         32
        .size:           8
        .value_kind:     by_value
      - .offset:         40
        .size:           8
        .value_kind:     by_value
      - .offset:         48
        .size:           8
        .value_kind:     by_value
      - .offset:         56
        .size:           8
        .value_kind:     by_value
      - .offset:         64
        .size:           8
        .value_kind:     by_value
      - .offset:         72
        .size:           8
        .value_kind:     by_value
      - .offset:         80
        .size:           8
        .value_kind:     by_value
      - .offset:         88
        .size:           8
        .value_kind:     by_value
      - .offset:         96
        .size:           8
        .value_kind:     by_value
      - .offset:         104
        .size:           8
        .value_kind:     by_value
      - .offset:         112
        .size:           8
        .value_kind:     by_value
      - .offset:         120
        .size:           8
        .value_kind:     by_value
      - .address_space:  global
        .offset:         128
        .size:           8
        .value_kind:     global_buffer
      - .offset:         136
        .size:           8
        .value_kind:     by_value
      - .offset:         144
        .size:           4
        .value_kind:     hidden_block_count_x
      - .offset:         148
        .size:           4
        .value_kind:     hidden_block_count_y
      - .offset:         152
        .size:           4
        .value_kind:     hidden_block_count_z
      - .offset:         156
        .size:           2
        .value_kind:     hidden_group_size_x
      - .offset:         158
        .size:           2
        .value_kind:     hidden_group_size_y
      - .offset:         160
        .size:           2
        .value_kind:     hidden_group_size_z
      - .offset:         162
        .size:           2
        .value_kind:     hidden_remainder_x
      - .offset:         164
        .size:           2
        .value_kind:     hidden_remainder_y
      - .offset:         166
        .size:           2
        .value_kind:     hidden_remainder_z
      - .offset:         184
        .size:           8
        .value_kind:     hidden_global_offset_x
      - .offset:         192
        .size:           8
        .value_kind:     hidden_global_offset_y
      - .offset:         200
        .size:           8
        .value_kind:     hidden_global_offset_z
      - .offset:         208
        .size:           2
        .value_kind:     hidden_grid_dims
    .group_segment_fixed_size: 0
    .kernarg_segment_align: 8
    .kernarg_segment_size: 400
    .language:       OpenCL C
    .language_version:
      - 2
      - 0
    .max_flat_workgroup_size: 512
    .name:           _ZN2at6native21col2im_batched_kernelIN3c108BFloat16EEEvlPKT_llllllllllllllPS4_l
    .private_segment_fixed_size: 0
    .sgpr_count:     81
    .sgpr_spill_count: 0
    .symbol:         _ZN2at6native21col2im_batched_kernelIN3c108BFloat16EEEvlPKT_llllllllllllllPS4_l.kd
    .uniform_work_group_size: 1
    .uses_dynamic_stack: false
    .vgpr_count:     48
    .vgpr_spill_count: 0
    .wavefront_size: 32
  - .args:
      - .offset:         0
        .size:           8
        .value_kind:     by_value
      - .address_space:  global
        .offset:         8
        .size:           8
        .value_kind:     global_buffer
      - .offset:         16
        .size:           8
        .value_kind:     by_value
      - .offset:         24
        .size:           8
        .value_kind:     by_value
      - .offset:         32
        .size:           8
        .value_kind:     by_value
      - .offset:         40
        .size:           8
        .value_kind:     by_value
      - .offset:         48
        .size:           8
        .value_kind:     by_value
      - .offset:         56
        .size:           8
        .value_kind:     by_value
      - .offset:         64
        .size:           8
        .value_kind:     by_value
      - .offset:         72
        .size:           8
        .value_kind:     by_value
      - .offset:         80
        .size:           8
        .value_kind:     by_value
      - .offset:         88
        .size:           8
        .value_kind:     by_value
      - .offset:         96
        .size:           8
        .value_kind:     by_value
      - .offset:         104
        .size:           8
        .value_kind:     by_value
      - .offset:         112
        .size:           8
        .value_kind:     by_value
      - .offset:         120
        .size:           8
        .value_kind:     by_value
      - .address_space:  global
        .offset:         128
        .size:           8
        .value_kind:     global_buffer
      - .offset:         136
        .size:           8
        .value_kind:     by_value
      - .offset:         144
        .size:           4
        .value_kind:     hidden_block_count_x
      - .offset:         148
        .size:           4
        .value_kind:     hidden_block_count_y
      - .offset:         152
        .size:           4
        .value_kind:     hidden_block_count_z
      - .offset:         156
        .size:           2
        .value_kind:     hidden_group_size_x
      - .offset:         158
        .size:           2
        .value_kind:     hidden_group_size_y
      - .offset:         160
        .size:           2
        .value_kind:     hidden_group_size_z
      - .offset:         162
        .size:           2
        .value_kind:     hidden_remainder_x
      - .offset:         164
        .size:           2
        .value_kind:     hidden_remainder_y
      - .offset:         166
        .size:           2
        .value_kind:     hidden_remainder_z
      - .offset:         184
        .size:           8
        .value_kind:     hidden_global_offset_x
      - .offset:         192
        .size:           8
        .value_kind:     hidden_global_offset_y
      - .offset:         200
        .size:           8
        .value_kind:     hidden_global_offset_z
      - .offset:         208
        .size:           2
        .value_kind:     hidden_grid_dims
    .group_segment_fixed_size: 0
    .kernarg_segment_align: 8
    .kernarg_segment_size: 400
    .language:       OpenCL C
    .language_version:
      - 2
      - 0
    .max_flat_workgroup_size: 512
    .name:           _ZN2at6native21col2im_batched_kernelIbEEvlPKT_llllllllllllllPS2_l
    .private_segment_fixed_size: 0
    .sgpr_count:     83
    .sgpr_spill_count: 0
    .symbol:         _ZN2at6native21col2im_batched_kernelIbEEvlPKT_llllllllllllllPS2_l.kd
    .uniform_work_group_size: 1
    .uses_dynamic_stack: false
    .vgpr_count:     46
    .vgpr_spill_count: 0
    .wavefront_size: 32
amdhsa.target:   amdgcn-amd-amdhsa--gfx1250
amdhsa.version:
  - 1
  - 2
...

	.end_amdgpu_metadata
